;; amdgpu-corpus repo=ROCm/rocFFT kind=compiled arch=gfx906 opt=O3
	.text
	.amdgcn_target "amdgcn-amd-amdhsa--gfx906"
	.amdhsa_code_object_version 6
	.protected	bluestein_single_fwd_len2430_dim1_dp_op_CI_CI ; -- Begin function bluestein_single_fwd_len2430_dim1_dp_op_CI_CI
	.globl	bluestein_single_fwd_len2430_dim1_dp_op_CI_CI
	.p2align	8
	.type	bluestein_single_fwd_len2430_dim1_dp_op_CI_CI,@function
bluestein_single_fwd_len2430_dim1_dp_op_CI_CI: ; @bluestein_single_fwd_len2430_dim1_dp_op_CI_CI
; %bb.0:
	s_load_dwordx4 s[16:19], s[4:5], 0x28
	s_mov_b64 s[42:43], s[2:3]
	v_mul_u32_u24_e32 v1, 0x32a, v0
	s_mov_b64 s[40:41], s[0:1]
	v_add_u32_sdwa v2, s6, v1 dst_sel:DWORD dst_unused:UNUSED_PAD src0_sel:DWORD src1_sel:WORD_1
	v_mov_b32_e32 v3, 0
	s_add_u32 s40, s40, s7
	s_waitcnt lgkmcnt(0)
	v_cmp_gt_u64_e32 vcc, s[16:17], v[2:3]
	s_addc_u32 s41, s41, 0
	s_movk_i32 s34, 0x32a
	s_and_saveexec_b64 s[0:1], vcc
	s_cbranch_execz .LBB0_2
; %bb.1:
	s_load_dwordx4 s[8:11], s[4:5], 0x18
	s_load_dwordx4 s[12:15], s[4:5], 0x0
	v_mov_b32_e32 v4, v2
	s_movk_i32 s6, 0x51
	v_mul_lo_u16_sdwa v1, v1, s6 dst_sel:DWORD dst_unused:UNUSED_PAD src0_sel:WORD_1 src1_sel:DWORD
	s_waitcnt lgkmcnt(0)
	s_load_dwordx4 s[0:3], s[8:9], 0x0
	buffer_store_dword v4, off, s[40:43], 0 offset:32 ; 4-byte Folded Spill
	s_nop 0
	buffer_store_dword v5, off, s[40:43], 0 offset:36 ; 4-byte Folded Spill
	v_sub_u16_e32 v255, v0, v1
	v_lshlrev_b32_e32 v44, 4, v255
	global_load_dwordx4 v[76:79], v44, s[12:13]
	s_waitcnt lgkmcnt(0)
	v_mad_u64_u32 v[0:1], s[8:9], s2, v2, 0
	v_mad_u64_u32 v[2:3], s[8:9], s0, v255, 0
	s_movk_i32 s35, 0x1000
	s_movk_i32 s36, 0x2000
	;; [unrolled: 1-line block ×4, first 2 shown]
	v_mov_b32_e32 v59, 0xffff7c60
	s_mov_b32 s21, 0xbfee6f0e
	s_mov_b32 s25, 0xbfe2cf23
	;; [unrolled: 1-line block ×11, first 2 shown]
	v_mad_u64_u32 v[4:5], s[2:3], s3, v4, v[1:2]
	v_mad_u64_u32 v[5:6], s[2:3], s1, v255, v[3:4]
	v_mov_b32_e32 v1, v4
	v_lshlrev_b64 v[0:1], 4, v[0:1]
	v_mov_b32_e32 v6, s19
	v_mov_b32_e32 v3, v5
	v_add_co_u32_e32 v4, vcc, s18, v0
	v_addc_co_u32_e32 v5, vcc, v6, v1, vcc
	v_lshlrev_b64 v[0:1], 4, v[2:3]
	v_mov_b32_e32 v2, s13
	v_add_co_u32_e32 v0, vcc, v4, v0
	v_addc_co_u32_e32 v1, vcc, v5, v1, vcc
	v_add_co_u32_e32 v162, vcc, s12, v44
	s_mul_i32 s2, s1, 0xf30
	s_mul_hi_u32 s3, s0, 0xf30
	v_addc_co_u32_e32 v251, vcc, 0, v2, vcc
	s_add_i32 s2, s3, s2
	s_mul_i32 s3, s0, 0xf30
	global_load_dwordx4 v[16:19], v[0:1], off
	v_add_co_u32_e32 v0, vcc, s3, v0
	v_mov_b32_e32 v2, s2
	v_addc_co_u32_e32 v1, vcc, v1, v2, vcc
	global_load_dwordx4 v[20:23], v[0:1], off
	global_load_dwordx4 v[84:87], v44, s[12:13] offset:3888
	v_add_co_u32_e32 v0, vcc, s3, v0
	v_addc_co_u32_e32 v1, vcc, v1, v2, vcc
	v_add_co_u32_e32 v60, vcc, s35, v162
	v_addc_co_u32_e32 v61, vcc, 0, v251, vcc
	global_load_dwordx4 v[24:27], v[0:1], off
	v_add_co_u32_e32 v0, vcc, s3, v0
	v_addc_co_u32_e32 v1, vcc, v1, v2, vcc
	global_load_dwordx4 v[28:31], v[0:1], off
	v_add_co_u32_e32 v62, vcc, s36, v162
	v_addc_co_u32_e32 v63, vcc, 0, v251, vcc
	v_add_co_u32_e32 v0, vcc, s3, v0
	v_addc_co_u32_e32 v1, vcc, v1, v2, vcc
	;; [unrolled: 2-line block ×3, first 2 shown]
	global_load_dwordx4 v[32:35], v[0:1], off
	v_add_co_u32_e32 v0, vcc, s3, v0
	global_load_dwordx4 v[94:97], v[60:61], off offset:3680
	global_load_dwordx4 v[102:105], v[62:63], off offset:3472
	v_addc_co_u32_e32 v1, vcc, v1, v2, vcc
	v_add_co_u32_e32 v66, vcc, s7, v162
	global_load_dwordx4 v[106:109], v[64:65], off offset:3264
	v_addc_co_u32_e32 v67, vcc, 0, v251, vcc
	global_load_dwordx4 v[110:113], v[66:67], off offset:3056
	global_load_dwordx4 v[36:39], v[0:1], off
	v_add_co_u32_e32 v0, vcc, s3, v0
	v_addc_co_u32_e32 v1, vcc, v1, v2, vcc
	s_movk_i32 s7, 0x5000
	v_add_co_u32_e32 v88, vcc, s7, v162
	v_addc_co_u32_e32 v89, vcc, 0, v251, vcc
	global_load_dwordx4 v[40:43], v[0:1], off
	v_add_co_u32_e32 v0, vcc, s3, v0
	v_addc_co_u32_e32 v1, vcc, v1, v2, vcc
	global_load_dwordx4 v[47:50], v[0:1], off
	s_movk_i32 s7, 0x6000
	v_add_co_u32_e32 v100, vcc, s7, v162
	v_addc_co_u32_e32 v101, vcc, 0, v251, vcc
	v_add_co_u32_e32 v0, vcc, s3, v0
	v_addc_co_u32_e32 v1, vcc, v1, v2, vcc
	s_movk_i32 s7, 0x7000
	v_add_co_u32_e32 v80, vcc, s7, v162
	v_addc_co_u32_e32 v81, vcc, 0, v251, vcc
	global_load_dwordx4 v[51:54], v[0:1], off
	v_add_co_u32_e32 v0, vcc, s3, v0
	v_addc_co_u32_e32 v1, vcc, v1, v2, vcc
	global_load_dwordx4 v[55:58], v[0:1], off
	v_mov_b32_e32 v2, 0xffff7c60
	v_mad_u64_u32 v[4:5], s[8:9], s0, v2, v[0:1]
	s_mov_b32 s7, 0x8000
	s_mul_i32 s1, s1, 0xffff7c60
	v_add_co_u32_e32 v82, vcc, s7, v162
	s_sub_i32 s1, s1, s0
	v_addc_co_u32_e32 v83, vcc, 0, v251, vcc
	v_add_u32_e32 v5, s1, v5
	global_load_dwordx4 v[114:117], v[88:89], off offset:2848
	global_load_dwordx4 v[118:121], v[100:101], off offset:2640
	;; [unrolled: 1-line block ×4, first 2 shown]
	global_load_dwordx4 v[0:3], v[4:5], off
	global_load_dwordx4 v[158:161], v44, s[12:13] offset:1296
	v_add_co_u32_e32 v8, vcc, s3, v4
	v_mov_b32_e32 v4, s2
	v_addc_co_u32_e32 v9, vcc, v5, v4, vcc
	global_load_dwordx4 v[4:7], v[8:9], off
	global_load_dwordx4 v[167:170], v[60:61], off offset:1088
	v_add_co_u32_e32 v12, vcc, s3, v8
	v_mov_b32_e32 v8, s2
	v_addc_co_u32_e32 v13, vcc, v9, v8, vcc
	global_load_dwordx4 v[8:11], v[12:13], off
	global_load_dwordx4 v[174:177], v[62:63], off offset:880
	;; [unrolled: 5-line block ×3, first 2 shown]
	s_waitcnt vmcnt(27)
	buffer_store_dword v76, off, s[40:43], 0 offset:312 ; 4-byte Folded Spill
	s_nop 0
	buffer_store_dword v77, off, s[40:43], 0 offset:316 ; 4-byte Folded Spill
	buffer_store_dword v78, off, s[40:43], 0 offset:320 ; 4-byte Folded Spill
	buffer_store_dword v79, off, s[40:43], 0 offset:324 ; 4-byte Folded Spill
	s_waitcnt vmcnt(28)
	buffer_store_dword v84, off, s[40:43], 0 offset:296 ; 4-byte Folded Spill
	s_nop 0
	buffer_store_dword v85, off, s[40:43], 0 offset:300 ; 4-byte Folded Spill
	buffer_store_dword v86, off, s[40:43], 0 offset:304 ; 4-byte Folded Spill
	buffer_store_dword v87, off, s[40:43], 0 offset:308 ; 4-byte Folded Spill
	;; [unrolled: 6-line block ×6, first 2 shown]
	s_load_dwordx4 s[8:11], s[10:11], 0x0
	s_mov_b32 s18, 0x4755a5e
	s_mov_b32 s19, 0x3fe2cf23
	;; [unrolled: 1-line block ×4, first 2 shown]
	v_mul_f64 v[68:69], v[18:19], v[78:79]
	v_mul_f64 v[70:71], v[16:17], v[78:79]
	;; [unrolled: 1-line block ×4, first 2 shown]
	s_waitcnt vmcnt(24)
	v_mul_f64 v[98:99], v[14:15], v[180:181]
	v_mul_f64 v[78:79], v[32:33], v[108:109]
	v_fma_f64 v[16:17], v[16:17], v[76:77], v[68:69]
	v_fma_f64 v[18:19], v[18:19], v[76:77], -v[70:71]
	v_mul_f64 v[68:69], v[26:27], v[96:97]
	v_mul_f64 v[70:71], v[24:25], v[96:97]
	v_fma_f64 v[20:21], v[20:21], v[84:85], v[72:73]
	v_fma_f64 v[22:23], v[22:23], v[84:85], -v[74:75]
	v_mul_f64 v[72:73], v[30:31], v[104:105]
	v_mul_f64 v[74:75], v[28:29], v[104:105]
	;; [unrolled: 1-line block ×5, first 2 shown]
	v_fma_f64 v[24:25], v[24:25], v[94:95], v[68:69]
	v_fma_f64 v[26:27], v[26:27], v[94:95], -v[70:71]
	v_fma_f64 v[34:35], v[34:35], v[106:107], -v[78:79]
	v_fma_f64 v[28:29], v[28:29], v[102:103], v[72:73]
	v_fma_f64 v[30:31], v[30:31], v[102:103], -v[74:75]
	v_fma_f64 v[32:33], v[32:33], v[106:107], v[76:77]
	v_fma_f64 v[36:37], v[36:37], v[110:111], v[84:85]
	v_fma_f64 v[38:39], v[38:39], v[110:111], -v[86:87]
	ds_write_b128 v44, v[16:19]
	ds_write_b128 v44, v[20:23] offset:3888
	ds_write_b128 v44, v[24:27] offset:7776
	;; [unrolled: 1-line block ×5, first 2 shown]
	buffer_store_dword v114, off, s[40:43], 0 offset:184 ; 4-byte Folded Spill
	s_nop 0
	buffer_store_dword v115, off, s[40:43], 0 offset:188 ; 4-byte Folded Spill
	buffer_store_dword v116, off, s[40:43], 0 offset:192 ; 4-byte Folded Spill
	buffer_store_dword v117, off, s[40:43], 0 offset:196 ; 4-byte Folded Spill
	buffer_store_dword v118, off, s[40:43], 0 offset:168 ; 4-byte Folded Spill
	s_nop 0
	buffer_store_dword v119, off, s[40:43], 0 offset:172 ; 4-byte Folded Spill
	buffer_store_dword v120, off, s[40:43], 0 offset:176 ; 4-byte Folded Spill
	buffer_store_dword v121, off, s[40:43], 0 offset:180 ; 4-byte Folded Spill
	;; [unrolled: 5-line block ×4, first 2 shown]
	v_add_co_u32_e32 v36, vcc, s3, v45
	v_mov_b32_e32 v32, s2
	v_addc_co_u32_e32 v37, vcc, v46, v32, vcc
	global_load_dwordx4 v[32:35], v[36:37], off
	global_load_dwordx4 v[198:201], v[66:67], off offset:464
	v_mul_f64 v[84:85], v[2:3], v[160:161]
	v_mul_f64 v[86:87], v[0:1], v[160:161]
	;; [unrolled: 1-line block ×12, first 2 shown]
	v_fma_f64 v[16:17], v[40:41], v[114:115], v[16:17]
	v_add_co_u32_e32 v40, vcc, s3, v36
	v_mov_b32_e32 v36, s2
	v_addc_co_u32_e32 v41, vcc, v37, v36, vcc
	global_load_dwordx4 v[36:39], v[40:41], off
	global_load_dwordx4 v[194:197], v[88:89], off offset:256
	v_add_co_u32_e32 v45, vcc, s3, v40
	v_mov_b32_e32 v40, s2
	v_addc_co_u32_e32 v46, vcc, v41, v40, vcc
	v_fma_f64 v[18:19], v[42:43], v[114:115], -v[18:19]
	v_fma_f64 v[20:21], v[47:48], v[118:119], v[20:21]
	global_load_dwordx4 v[40:43], v[45:46], off
	global_load_dwordx4 v[186:189], v[100:101], off offset:48
	v_add_co_u32_e32 v45, vcc, s3, v45
	v_mov_b32_e32 v47, s2
	v_addc_co_u32_e32 v46, vcc, v46, v47, vcc
	global_load_dwordx4 v[102:105], v[45:46], off
	global_load_dwordx4 v[182:185], v[100:101], off offset:3936
	v_add_co_u32_e32 v45, vcc, s3, v45
	v_addc_co_u32_e32 v46, vcc, v46, v47, vcc
	v_fma_f64 v[22:23], v[49:50], v[118:119], -v[22:23]
	v_fma_f64 v[24:25], v[51:52], v[122:123], v[24:25]
	global_load_dwordx4 v[48:51], v[45:46], off
	v_add_co_u32_e32 v45, vcc, s3, v45
	v_addc_co_u32_e32 v46, vcc, v46, v47, vcc
	v_mad_u64_u32 v[68:69], s[16:17], s0, v59, v[45:46]
	v_fma_f64 v[26:27], v[53:54], v[122:123], -v[26:27]
	v_fma_f64 v[28:29], v[55:56], v[90:91], v[28:29]
	global_load_dwordx4 v[190:193], v[80:81], off offset:3728
	global_load_dwordx4 v[52:55], v[45:46], off
	global_load_dwordx4 v[134:137], v[82:83], off offset:3520
	v_add_u32_e32 v69, s1, v69
	v_add_co_u32_e32 v45, vcc, s3, v68
	v_mov_b32_e32 v46, s2
	v_addc_co_u32_e32 v46, vcc, v69, v46, vcc
	v_fma_f64 v[30:31], v[57:58], v[90:91], -v[30:31]
	global_load_dwordx4 v[56:59], v[68:69], off
	global_load_dwordx4 v[163:166], v44, s[12:13] offset:2592
	global_load_dwordx4 v[72:75], v[45:46], off
	global_load_dwordx4 v[150:153], v[60:61], off offset:2384
	v_add_co_u32_e32 v45, vcc, s3, v45
	v_addc_co_u32_e32 v46, vcc, v46, v47, vcc
	global_load_dwordx4 v[68:71], v[45:46], off
	global_load_dwordx4 v[146:149], v[62:63], off offset:2176
	v_add_co_u32_e32 v45, vcc, s3, v45
	v_addc_co_u32_e32 v46, vcc, v46, v47, vcc
	;; [unrolled: 4-line block ×8, first 2 shown]
	s_mov_b32 s0, 0x9000
	v_add_co_u32_e32 v88, vcc, s0, v162
	v_addc_co_u32_e32 v89, vcc, 0, v251, vcc
	global_load_dwordx4 v[80:83], v[45:46], off
	global_load_dwordx4 v[130:133], v[88:89], off offset:720
	s_nop 0
	buffer_store_dword v158, off, s[40:43], 0 offset:472 ; 4-byte Folded Spill
	s_nop 0
	buffer_store_dword v159, off, s[40:43], 0 offset:476 ; 4-byte Folded Spill
	buffer_store_dword v160, off, s[40:43], 0 offset:480 ; 4-byte Folded Spill
	;; [unrolled: 1-line block ×3, first 2 shown]
	v_mul_f64 v[90:91], v[6:7], v[169:170]
	v_mul_f64 v[92:93], v[4:5], v[169:170]
	buffer_store_dword v167, off, s[40:43], 0 offset:456 ; 4-byte Folded Spill
	s_nop 0
	buffer_store_dword v168, off, s[40:43], 0 offset:460 ; 4-byte Folded Spill
	buffer_store_dword v169, off, s[40:43], 0 offset:464 ; 4-byte Folded Spill
	;; [unrolled: 1-line block ×4, first 2 shown]
	s_nop 0
	buffer_store_dword v175, off, s[40:43], 0 offset:444 ; 4-byte Folded Spill
	buffer_store_dword v176, off, s[40:43], 0 offset:448 ; 4-byte Folded Spill
	;; [unrolled: 1-line block ×3, first 2 shown]
	v_mul_f64 v[45:46], v[12:13], v[180:181]
	buffer_store_dword v178, off, s[40:43], 0 offset:424 ; 4-byte Folded Spill
	s_nop 0
	buffer_store_dword v179, off, s[40:43], 0 offset:428 ; 4-byte Folded Spill
	buffer_store_dword v180, off, s[40:43], 0 offset:432 ; 4-byte Folded Spill
	;; [unrolled: 1-line block ×3, first 2 shown]
	s_mov_b32 s16, 0x134454ff
	s_mov_b32 s17, 0x3fee6f0e
	;; [unrolled: 1-line block ×3, first 2 shown]
	s_movk_i32 s0, 0xf3
	s_movk_i32 s2, 0xa2
	s_mov_b32 s12, 0xe8584caa
	s_mov_b32 s13, 0x3febb67a
	v_fma_f64 v[0:1], v[0:1], v[158:159], v[84:85]
	v_fma_f64 v[2:3], v[2:3], v[158:159], -v[86:87]
	v_fma_f64 v[4:5], v[4:5], v[167:168], v[90:91]
	v_fma_f64 v[6:7], v[6:7], v[167:168], -v[92:93]
	;; [unrolled: 2-line block ×4, first 2 shown]
	ds_write_b128 v44, v[16:19] offset:23328
	ds_write_b128 v44, v[20:23] offset:27216
	ds_write_b128 v44, v[24:27] offset:31104
	ds_write_b128 v44, v[28:31] offset:34992
	ds_write_b128 v44, v[0:3] offset:1296
	ds_write_b128 v44, v[4:7] offset:5184
	ds_write_b128 v44, v[8:11] offset:9072
	ds_write_b128 v44, v[12:15] offset:12960
	s_waitcnt vmcnt(46)
	buffer_store_dword v198, off, s[40:43], 0 offset:408 ; 4-byte Folded Spill
	s_nop 0
	buffer_store_dword v199, off, s[40:43], 0 offset:412 ; 4-byte Folded Spill
	buffer_store_dword v200, off, s[40:43], 0 offset:416 ; 4-byte Folded Spill
	buffer_store_dword v201, off, s[40:43], 0 offset:420 ; 4-byte Folded Spill
	s_waitcnt vmcnt(48)
	buffer_store_dword v194, off, s[40:43], 0 offset:392 ; 4-byte Folded Spill
	s_nop 0
	buffer_store_dword v195, off, s[40:43], 0 offset:396 ; 4-byte Folded Spill
	buffer_store_dword v196, off, s[40:43], 0 offset:400 ; 4-byte Folded Spill
	buffer_store_dword v197, off, s[40:43], 0 offset:404 ; 4-byte Folded Spill
	;; [unrolled: 6-line block ×8, first 2 shown]
	v_mul_f64 v[0:1], v[34:35], v[200:201]
	v_mul_f64 v[2:3], v[32:33], v[200:201]
	;; [unrolled: 1-line block ×16, first 2 shown]
	v_fma_f64 v[0:1], v[32:33], v[198:199], v[0:1]
	v_fma_f64 v[2:3], v[34:35], v[198:199], -v[2:3]
	v_fma_f64 v[4:5], v[36:37], v[194:195], v[4:5]
	v_fma_f64 v[6:7], v[38:39], v[194:195], -v[6:7]
	;; [unrolled: 2-line block ×8, first 2 shown]
	ds_write_b128 v44, v[0:3] offset:16848
	ds_write_b128 v44, v[4:7] offset:20736
	;; [unrolled: 1-line block ×8, first 2 shown]
	s_waitcnt vmcnt(62)
	buffer_store_dword v146, off, s[40:43], 0 offset:120 ; 4-byte Folded Spill
	s_nop 0
	buffer_store_dword v147, off, s[40:43], 0 offset:124 ; 4-byte Folded Spill
	buffer_store_dword v148, off, s[40:43], 0 offset:128 ; 4-byte Folded Spill
	;; [unrolled: 1-line block ×3, first 2 shown]
	s_waitcnt vmcnt(62)
	buffer_store_dword v142, off, s[40:43], 0 offset:104 ; 4-byte Folded Spill
	s_nop 0
	buffer_store_dword v143, off, s[40:43], 0 offset:108 ; 4-byte Folded Spill
	buffer_store_dword v144, off, s[40:43], 0 offset:112 ; 4-byte Folded Spill
	;; [unrolled: 1-line block ×4, first 2 shown]
	s_nop 0
	buffer_store_dword v139, off, s[40:43], 0 offset:92 ; 4-byte Folded Spill
	buffer_store_dword v140, off, s[40:43], 0 offset:96 ; 4-byte Folded Spill
	;; [unrolled: 1-line block ×3, first 2 shown]
	s_waitcnt vmcnt(62)
	buffer_store_dword v122, off, s[40:43], 0 offset:56 ; 4-byte Folded Spill
	s_nop 0
	buffer_store_dword v123, off, s[40:43], 0 offset:60 ; 4-byte Folded Spill
	buffer_store_dword v124, off, s[40:43], 0 offset:64 ; 4-byte Folded Spill
	;; [unrolled: 1-line block ×3, first 2 shown]
	s_waitcnt vmcnt(62)
	buffer_store_dword v130, off, s[40:43], 0 ; 4-byte Folded Spill
	s_nop 0
	buffer_store_dword v131, off, s[40:43], 0 offset:4 ; 4-byte Folded Spill
	buffer_store_dword v132, off, s[40:43], 0 offset:8 ; 4-byte Folded Spill
	buffer_store_dword v133, off, s[40:43], 0 offset:12 ; 4-byte Folded Spill
	v_mul_f64 v[16:17], v[62:63], v[120:121]
	v_mul_f64 v[18:19], v[60:61], v[120:121]
	buffer_store_dword v118, off, s[40:43], 0 offset:72 ; 4-byte Folded Spill
	s_nop 0
	buffer_store_dword v119, off, s[40:43], 0 offset:76 ; 4-byte Folded Spill
	buffer_store_dword v120, off, s[40:43], 0 offset:80 ; 4-byte Folded Spill
	buffer_store_dword v121, off, s[40:43], 0 offset:84 ; 4-byte Folded Spill
	v_mul_f64 v[20:21], v[66:67], v[156:157]
	v_mul_f64 v[22:23], v[64:65], v[156:157]
	buffer_store_dword v154, off, s[40:43], 0 offset:40 ; 4-byte Folded Spill
	;; [unrolled: 7-line block ×3, first 2 shown]
	s_nop 0
	buffer_store_dword v127, off, s[40:43], 0 offset:20 ; 4-byte Folded Spill
	buffer_store_dword v128, off, s[40:43], 0 offset:24 ; 4-byte Folded Spill
	;; [unrolled: 1-line block ×3, first 2 shown]
	v_mul_f64 v[0:1], v[70:71], v[148:149]
	v_mul_f64 v[2:3], v[68:69], v[148:149]
	;; [unrolled: 1-line block ×10, first 2 shown]
	v_fma_f64 v[0:1], v[68:69], v[146:147], v[0:1]
	v_fma_f64 v[2:3], v[70:71], v[146:147], -v[2:3]
	v_fma_f64 v[4:5], v[76:77], v[142:143], v[4:5]
	v_fma_f64 v[6:7], v[78:79], v[142:143], -v[6:7]
	;; [unrolled: 2-line block ×8, first 2 shown]
	ds_write_b128 v44, v[0:3] offset:10368
	ds_write_b128 v44, v[4:7] offset:14256
	;; [unrolled: 1-line block ×8, first 2 shown]
	s_waitcnt vmcnt(0) lgkmcnt(0)
	s_barrier
	ds_read_b128 v[90:93], v44
	ds_read_b128 v[24:27], v44 offset:3888
	ds_read_b128 v[32:35], v44 offset:7776
	;; [unrolled: 1-line block ×10, first 2 shown]
	s_waitcnt lgkmcnt(4)
	v_add_f64 v[0:1], v[36:37], v[40:41]
	v_add_f64 v[2:3], v[90:91], v[32:33]
	s_waitcnt lgkmcnt(2)
	v_add_f64 v[94:95], v[34:35], -v[30:31]
	v_add_f64 v[104:105], v[32:33], v[28:29]
	v_add_f64 v[100:101], v[38:39], -v[42:43]
	v_add_f64 v[102:103], v[32:33], -v[36:37]
	;; [unrolled: 1-line block ×4, first 2 shown]
	v_fma_f64 v[45:46], v[0:1], -0.5, v[90:91]
	v_add_f64 v[96:97], v[2:3], v[36:37]
	v_add_f64 v[110:111], v[40:41], -v[28:29]
	v_fma_f64 v[90:91], v[104:105], -0.5, v[90:91]
	v_add_f64 v[104:105], v[38:39], v[42:43]
	v_add_f64 v[32:33], v[32:33], -v[28:29]
	v_add_f64 v[102:103], v[102:103], v[106:107]
	v_add_f64 v[36:37], v[36:37], -v[40:41]
	v_fma_f64 v[98:99], v[94:95], s[16:17], v[45:46]
	v_fma_f64 v[45:46], v[94:95], s[20:21], v[45:46]
	v_add_f64 v[96:97], v[96:97], v[40:41]
	v_fma_f64 v[106:107], v[100:101], s[20:21], v[90:91]
	v_fma_f64 v[90:91], v[100:101], s[16:17], v[90:91]
	v_fma_f64 v[104:105], v[104:105], -0.5, v[92:93]
	v_add_f64 v[40:41], v[34:35], -v[38:39]
	v_add_f64 v[114:115], v[16:17], -v[8:9]
	v_fma_f64 v[98:99], v[100:101], s[18:19], v[98:99]
	v_fma_f64 v[45:46], v[100:101], s[24:25], v[45:46]
	v_add_f64 v[100:101], v[92:93], v[34:35]
	v_add_f64 v[28:29], v[96:97], v[28:29]
	v_fma_f64 v[90:91], v[94:95], s[24:25], v[90:91]
	ds_read_b128 v[68:71], v44 offset:5184
	ds_read_b128 v[72:75], v44 offset:9072
	;; [unrolled: 1-line block ×8, first 2 shown]
	v_fma_f64 v[98:99], v[102:103], s[22:23], v[98:99]
	v_fma_f64 v[45:46], v[102:103], s[22:23], v[45:46]
	;; [unrolled: 1-line block ×3, first 2 shown]
	v_add_f64 v[106:107], v[108:109], v[110:111]
	v_add_f64 v[108:109], v[34:35], v[30:31]
	;; [unrolled: 1-line block ×3, first 2 shown]
	v_fma_f64 v[100:101], v[32:33], s[20:21], v[104:105]
	v_add_f64 v[110:111], v[30:31], -v[42:43]
	v_fma_f64 v[104:105], v[32:33], s[16:17], v[104:105]
	v_add_f64 v[34:35], v[38:39], -v[34:35]
	v_add_f64 v[38:39], v[24:25], v[12:13]
	v_fma_f64 v[96:97], v[106:107], s[22:23], v[102:103]
	v_fma_f64 v[92:93], v[108:109], -0.5, v[92:93]
	v_fma_f64 v[102:103], v[106:107], s[22:23], v[90:91]
	v_add_f64 v[90:91], v[94:95], v[42:43]
	v_fma_f64 v[94:95], v[36:37], s[24:25], v[100:101]
	v_add_f64 v[100:101], v[16:17], v[8:9]
	v_add_f64 v[42:43], v[42:43], -v[30:31]
	s_waitcnt lgkmcnt(9)
	v_add_f64 v[108:109], v[14:15], -v[6:7]
	v_add_f64 v[40:41], v[40:41], v[110:111]
	v_fma_f64 v[106:107], v[36:37], s[16:17], v[92:93]
	v_fma_f64 v[92:93], v[36:37], s[20:21], v[92:93]
	v_add_f64 v[30:31], v[90:91], v[30:31]
	v_fma_f64 v[36:37], v[36:37], s[18:19], v[104:105]
	v_fma_f64 v[100:101], v[100:101], -0.5, v[24:25]
	v_add_f64 v[34:35], v[34:35], v[42:43]
	v_add_f64 v[104:105], v[12:13], -v[16:17]
	v_fma_f64 v[94:95], v[40:41], s[22:23], v[94:95]
	v_fma_f64 v[90:91], v[32:33], s[24:25], v[106:107]
	;; [unrolled: 1-line block ×3, first 2 shown]
	v_add_f64 v[92:93], v[18:19], -v[10:11]
	v_add_f64 v[106:107], v[4:5], -v[8:9]
	v_fma_f64 v[42:43], v[108:109], s[16:17], v[100:101]
	v_fma_f64 v[110:111], v[40:41], s[22:23], v[36:37]
	v_fma_f64 v[36:37], v[108:109], s[20:21], v[100:101]
	v_add_f64 v[38:39], v[38:39], v[16:17]
	v_fma_f64 v[100:101], v[34:35], s[22:23], v[90:91]
	v_fma_f64 v[112:113], v[34:35], s[22:23], v[32:33]
	v_add_f64 v[32:33], v[18:19], v[10:11]
	v_add_f64 v[40:41], v[104:105], v[106:107]
	v_fma_f64 v[34:35], v[92:93], s[18:19], v[42:43]
	v_add_f64 v[42:43], v[14:15], v[6:7]
	v_fma_f64 v[36:37], v[92:93], s[24:25], v[36:37]
	v_add_f64 v[90:91], v[12:13], v[4:5]
	v_add_f64 v[104:105], v[26:27], v[14:15]
	v_add_f64 v[106:107], v[12:13], -v[4:5]
	v_fma_f64 v[32:33], v[32:33], -0.5, v[26:27]
	v_add_f64 v[38:39], v[38:39], v[8:9]
	v_fma_f64 v[34:35], v[40:41], s[22:23], v[34:35]
	v_fma_f64 v[26:27], v[42:43], -0.5, v[26:27]
	v_fma_f64 v[36:37], v[40:41], s[22:23], v[36:37]
	v_fma_f64 v[24:25], v[90:91], -0.5, v[24:25]
	v_add_f64 v[12:13], v[16:17], -v[12:13]
	v_add_f64 v[16:17], v[104:105], v[18:19]
	v_fma_f64 v[40:41], v[106:107], s[20:21], v[32:33]
	v_add_f64 v[42:43], v[14:15], -v[18:19]
	v_add_f64 v[90:91], v[6:7], -v[10:11]
	v_fma_f64 v[104:105], v[114:115], s[16:17], v[26:27]
	v_add_f64 v[14:15], v[18:19], -v[14:15]
	v_add_f64 v[18:19], v[10:11], -v[6:7]
	v_add_f64 v[38:39], v[38:39], v[4:5]
	v_fma_f64 v[116:117], v[92:93], s[20:21], v[24:25]
	v_add_f64 v[4:5], v[8:9], -v[4:5]
	v_fma_f64 v[8:9], v[92:93], s[16:17], v[24:25]
	v_fma_f64 v[24:25], v[114:115], s[24:25], v[40:41]
	v_add_f64 v[40:41], v[42:43], v[90:91]
	v_fma_f64 v[42:43], v[106:107], s[24:25], v[104:105]
	v_add_f64 v[14:15], v[14:15], v[18:19]
	v_fma_f64 v[32:33], v[106:107], s[16:17], v[32:33]
	v_fma_f64 v[18:19], v[114:115], s[20:21], v[26:27]
	;; [unrolled: 1-line block ×3, first 2 shown]
	v_add_f64 v[4:5], v[12:13], v[4:5]
	v_add_f64 v[10:11], v[16:17], v[10:11]
	v_fma_f64 v[12:13], v[40:41], s[22:23], v[24:25]
	v_fma_f64 v[8:9], v[108:109], s[24:25], v[8:9]
	;; [unrolled: 1-line block ×5, first 2 shown]
	v_mul_f64 v[32:33], v[34:35], s[30:31]
	v_fma_f64 v[26:27], v[4:5], s[22:23], v[26:27]
	v_add_f64 v[92:93], v[10:11], v[6:7]
	s_waitcnt lgkmcnt(2)
	v_add_f64 v[120:121], v[80:81], v[76:77]
	v_fma_f64 v[42:43], v[4:5], s[22:23], v[8:9]
	v_mul_f64 v[10:11], v[24:25], s[16:17]
	v_fma_f64 v[6:7], v[40:41], s[22:23], v[16:17]
	v_fma_f64 v[8:9], v[14:15], s[22:23], v[18:19]
	v_mul_f64 v[18:19], v[36:37], s[26:27]
	v_fma_f64 v[40:41], v[12:13], s[18:19], v[32:33]
	v_add_f64 v[4:5], v[28:29], v[38:39]
	ds_read_b128 v[52:55], v44 offset:36288
	ds_read_b128 v[0:3], v44 offset:2592
	v_mul_f64 v[14:15], v[42:43], s[28:29]
	v_fma_f64 v[104:105], v[26:27], s[22:23], v[10:11]
	v_mul_f64 v[26:27], v[26:27], s[20:21]
	v_mul_f64 v[10:11], v[34:35], s[24:25]
	;; [unrolled: 1-line block ×3, first 2 shown]
	v_fma_f64 v[108:109], v[6:7], s[18:19], v[18:19]
	v_mul_f64 v[34:35], v[6:7], s[26:27]
	v_add_f64 v[16:17], v[98:99], v[40:41]
	v_fma_f64 v[106:107], v[8:9], s[16:17], v[14:15]
	v_add_f64 v[8:9], v[96:97], v[104:105]
	v_fma_f64 v[26:27], v[24:25], s[22:23], v[26:27]
	v_add_f64 v[24:25], v[48:49], v[72:73]
	v_fma_f64 v[114:115], v[12:13], s[30:31], v[10:11]
	v_fma_f64 v[116:117], v[42:43], s[20:21], v[32:33]
	v_add_f64 v[32:33], v[45:46], v[108:109]
	v_fma_f64 v[118:119], v[36:37], s[24:25], v[34:35]
	v_add_f64 v[12:13], v[102:103], v[106:107]
	v_add_f64 v[6:7], v[30:31], v[92:93]
	v_add_f64 v[36:37], v[28:29], -v[38:39]
	v_add_f64 v[42:43], v[24:25], v[80:81]
	v_add_f64 v[24:25], v[45:46], -v[108:109]
	s_waitcnt lgkmcnt(2)
	v_add_f64 v[45:46], v[72:73], v[84:85]
	v_add_f64 v[18:19], v[94:95], v[114:115]
	v_add_f64 v[90:91], v[98:99], -v[40:41]
	v_add_f64 v[40:41], v[96:97], -v[104:105]
	v_add_f64 v[28:29], v[102:103], -v[106:107]
	v_add_f64 v[38:39], v[30:31], -v[92:93]
	v_add_f64 v[96:97], v[42:43], v[76:77]
	v_fma_f64 v[98:99], v[120:121], -0.5, v[48:49]
	v_add_f64 v[102:103], v[74:75], -v[86:87]
	v_add_f64 v[92:93], v[94:95], -v[114:115]
	;; [unrolled: 1-line block ×3, first 2 shown]
	v_fma_f64 v[45:46], v[45:46], -0.5, v[48:49]
	v_add_f64 v[10:11], v[100:101], v[26:27]
	v_add_f64 v[42:43], v[100:101], -v[26:27]
	v_add_f64 v[104:105], v[96:97], v[84:85]
	v_add_f64 v[96:97], v[72:73], -v[80:81]
	v_fma_f64 v[47:48], v[102:103], s[16:17], v[98:99]
	v_add_f64 v[100:101], v[50:51], v[74:75]
	v_add_f64 v[106:107], v[84:85], -v[76:77]
	v_fma_f64 v[98:99], v[102:103], s[20:21], v[98:99]
	v_fma_f64 v[108:109], v[94:95], s[20:21], v[45:46]
	v_add_f64 v[14:15], v[112:113], v[116:117]
	v_add_f64 v[34:35], v[110:111], v[118:119]
	v_add_f64 v[30:31], v[112:113], -v[116:117]
	v_add_f64 v[26:27], v[110:111], -v[118:119]
	;; [unrolled: 1-line block ×4, first 2 shown]
	v_fma_f64 v[47:48], v[94:95], s[18:19], v[47:48]
	v_fma_f64 v[45:46], v[94:95], s[16:17], v[45:46]
	v_add_f64 v[100:101], v[100:101], v[82:83]
	v_add_f64 v[114:115], v[82:83], v[78:79]
	;; [unrolled: 1-line block ×3, first 2 shown]
	v_fma_f64 v[94:95], v[94:95], s[24:25], v[98:99]
	v_fma_f64 v[98:99], v[102:103], s[18:19], v[108:109]
	v_add_f64 v[108:109], v[74:75], v[86:87]
	v_add_f64 v[106:107], v[110:111], v[112:113]
	v_fma_f64 v[45:46], v[102:103], s[24:25], v[45:46]
	v_add_f64 v[100:101], v[100:101], v[78:79]
	v_fma_f64 v[102:103], v[114:115], -0.5, v[50:51]
	v_add_f64 v[72:73], v[72:73], -v[84:85]
	v_fma_f64 v[84:85], v[96:97], s[22:23], v[47:48]
	v_add_f64 v[47:48], v[80:81], -v[76:77]
	v_fma_f64 v[49:50], v[108:109], -0.5, v[50:51]
	v_fma_f64 v[110:111], v[96:97], s[22:23], v[94:95]
	v_fma_f64 v[80:81], v[106:107], s[22:23], v[98:99]
	;; [unrolled: 1-line block ×3, first 2 shown]
	v_add_f64 v[106:107], v[100:101], v[86:87]
	v_fma_f64 v[76:77], v[72:73], s[20:21], v[102:103]
	v_add_f64 v[94:95], v[74:75], -v[82:83]
	v_add_f64 v[96:97], v[86:87], -v[78:79]
	v_fma_f64 v[98:99], v[72:73], s[16:17], v[102:103]
	v_fma_f64 v[100:101], v[47:48], s[16:17], v[49:50]
	v_add_f64 v[74:75], v[82:83], -v[74:75]
	v_add_f64 v[78:79], v[78:79], -v[86:87]
	v_fma_f64 v[49:50], v[47:48], s[20:21], v[49:50]
	v_add_f64 v[82:83], v[60:61], v[56:57]
	v_fma_f64 v[76:77], v[47:48], s[24:25], v[76:77]
	v_add_f64 v[86:87], v[94:95], v[96:97]
	v_fma_f64 v[47:48], v[47:48], s[18:19], v[98:99]
	v_fma_f64 v[94:95], v[72:73], s[24:25], v[100:101]
	s_waitcnt lgkmcnt(1)
	v_add_f64 v[96:97], v[64:65], v[52:53]
	v_add_f64 v[74:75], v[74:75], v[78:79]
	v_fma_f64 v[49:50], v[72:73], s[18:19], v[49:50]
	v_fma_f64 v[72:73], v[82:83], -0.5, v[68:69]
	v_add_f64 v[78:79], v[66:67], -v[54:55]
	v_fma_f64 v[82:83], v[86:87], s[22:23], v[76:77]
	v_fma_f64 v[102:103], v[86:87], s[22:23], v[47:48]
	v_add_f64 v[47:48], v[62:63], -v[58:59]
	v_fma_f64 v[76:77], v[96:97], -0.5, v[68:69]
	v_fma_f64 v[86:87], v[74:75], s[22:23], v[94:95]
	v_fma_f64 v[108:109], v[74:75], s[22:23], v[49:50]
	v_add_f64 v[74:75], v[64:65], -v[60:61]
	v_add_f64 v[94:95], v[52:53], -v[56:57]
	v_add_f64 v[49:50], v[68:69], v[64:65]
	v_fma_f64 v[68:69], v[78:79], s[16:17], v[72:73]
	v_fma_f64 v[72:73], v[78:79], s[20:21], v[72:73]
	v_add_f64 v[112:113], v[62:63], v[58:59]
	v_fma_f64 v[96:97], v[47:48], s[20:21], v[76:77]
	v_add_f64 v[98:99], v[60:61], -v[64:65]
	v_add_f64 v[100:101], v[56:57], -v[52:53]
	v_add_f64 v[74:75], v[74:75], v[94:95]
	v_add_f64 v[94:95], v[66:67], v[54:55]
	;; [unrolled: 1-line block ×3, first 2 shown]
	v_fma_f64 v[68:69], v[47:48], s[18:19], v[68:69]
	v_fma_f64 v[72:73], v[47:48], s[24:25], v[72:73]
	;; [unrolled: 1-line block ×3, first 2 shown]
	v_add_f64 v[76:77], v[70:71], v[66:67]
	v_fma_f64 v[112:113], v[112:113], -0.5, v[70:71]
	v_add_f64 v[64:65], v[64:65], -v[52:53]
	v_add_f64 v[60:61], v[60:61], -v[56:57]
	v_fma_f64 v[70:71], v[94:95], -0.5, v[70:71]
	v_add_f64 v[116:117], v[98:99], v[100:101]
	v_add_f64 v[98:99], v[66:67], -v[62:63]
	v_add_f64 v[100:101], v[54:55], -v[58:59]
	;; [unrolled: 1-line block ×4, first 2 shown]
	v_fma_f64 v[47:48], v[78:79], s[24:25], v[47:48]
	v_add_f64 v[49:50], v[49:50], v[56:57]
	v_add_f64 v[56:57], v[76:77], v[62:63]
	v_fma_f64 v[62:63], v[60:61], s[16:17], v[70:71]
	v_fma_f64 v[76:77], v[64:65], s[20:21], v[112:113]
	;; [unrolled: 1-line block ×5, first 2 shown]
	v_add_f64 v[78:79], v[98:99], v[100:101]
	v_add_f64 v[66:67], v[66:67], v[118:119]
	;; [unrolled: 1-line block ×3, first 2 shown]
	v_fma_f64 v[49:50], v[64:65], s[24:25], v[62:63]
	v_fma_f64 v[51:52], v[74:75], s[22:23], v[68:69]
	;; [unrolled: 1-line block ×4, first 2 shown]
	v_add_f64 v[56:57], v[56:57], v[58:59]
	v_fma_f64 v[58:59], v[60:61], s[18:19], v[112:113]
	v_fma_f64 v[60:61], v[64:65], s[18:19], v[70:71]
	;; [unrolled: 1-line block ×6, first 2 shown]
	v_mul_f64 v[74:75], v[51:52], s[30:31]
	v_add_f64 v[112:113], v[56:57], v[54:55]
	v_fma_f64 v[53:54], v[78:79], s[22:23], v[58:59]
	v_fma_f64 v[55:56], v[66:67], s[22:23], v[60:61]
	v_mul_f64 v[59:60], v[72:73], s[28:29]
	v_mul_f64 v[50:51], v[51:52], s[24:25]
	;; [unrolled: 1-line block ×4, first 2 shown]
	v_fma_f64 v[74:75], v[62:63], s[18:19], v[74:75]
	ds_read_b128 v[20:23], v44 offset:10368
	v_mul_f64 v[114:115], v[53:54], s[26:27]
	v_mul_f64 v[78:79], v[55:56], s[28:29]
	v_fma_f64 v[120:121], v[55:56], s[16:17], v[59:60]
	v_mul_f64 v[66:67], v[68:69], s[26:27]
	v_add_f64 v[48:49], v[104:105], v[118:119]
	v_fma_f64 v[116:117], v[64:65], s[22:23], v[57:58]
	v_add_f64 v[64:65], v[84:85], v[74:75]
	v_fma_f64 v[124:125], v[62:63], s[30:31], v[50:51]
	v_fma_f64 v[70:71], v[70:71], s[22:23], v[76:77]
	;; [unrolled: 1-line block ×4, first 2 shown]
	v_add_f64 v[56:57], v[45:46], v[120:121]
	v_add_f64 v[76:77], v[104:105], -v[118:119]
	v_add_f64 v[72:73], v[84:85], -v[74:75]
	s_waitcnt lgkmcnt(0)
	v_add_f64 v[104:105], v[0:1], v[20:21]
	v_add_f64 v[84:85], v[45:46], -v[120:121]
	v_add_f64 v[45:46], v[2:3], v[22:23]
	ds_read_b128 v[94:97], v44 offset:18144
	v_fma_f64 v[122:123], v[53:54], s[18:19], v[66:67]
	ds_read_b128 v[98:101], v44 offset:25920
	v_add_f64 v[66:67], v[82:83], v[124:125]
	v_add_f64 v[54:55], v[102:103], v[114:115]
	v_add_f64 v[74:75], v[82:83], -v[124:125]
	v_add_f64 v[82:83], v[102:103], -v[114:115]
	s_waitcnt lgkmcnt(1)
	v_add_f64 v[102:103], v[104:105], v[94:95]
	v_add_f64 v[45:46], v[45:46], v[96:97]
	;; [unrolled: 1-line block ×7, first 2 shown]
	v_add_f64 v[68:69], v[80:81], -v[116:117]
	v_add_f64 v[78:79], v[106:107], -v[112:113]
	;; [unrolled: 1-line block ×5, first 2 shown]
	s_waitcnt lgkmcnt(0)
	v_add_f64 v[106:107], v[94:95], v[98:99]
	v_add_f64 v[122:123], v[96:97], -v[100:101]
	v_add_f64 v[108:109], v[20:21], -v[94:95]
	v_add_f64 v[110:111], v[94:95], -v[20:21]
	v_add_f64 v[112:113], v[96:97], v[100:101]
	v_add_f64 v[124:125], v[94:95], -v[98:99]
	v_add_f64 v[114:115], v[22:23], -v[96:97]
	;; [unrolled: 1-line block ×3, first 2 shown]
	ds_read_b128 v[94:97], v44 offset:33696
	v_add_co_u32_e32 v47, vcc, s0, v255
	v_fma_f64 v[171:172], v[112:113], -0.5, v[2:3]
	s_waitcnt lgkmcnt(0)
	v_add_f64 v[126:127], v[22:23], -v[96:97]
	v_add_f64 v[118:119], v[20:21], v[94:95]
	v_add_f64 v[128:129], v[20:21], -v[94:95]
	v_add_f64 v[120:121], v[22:23], v[96:97]
	v_add_f64 v[20:21], v[102:103], v[98:99]
	v_add_f64 v[22:23], v[45:46], v[100:101]
	v_add_f64 v[45:46], v[94:95], -v[98:99]
	v_add_f64 v[130:131], v[98:99], -v[94:95]
	;; [unrolled: 1-line block ×4, first 2 shown]
	v_fma_f64 v[2:3], v[120:121], -0.5, v[2:3]
	v_add_f64 v[136:137], v[20:21], v[94:95]
	v_add_f64 v[138:139], v[22:23], v[96:97]
	ds_read_b128 v[20:23], v44 offset:6480
	ds_read_b128 v[94:97], v44 offset:14256
	;; [unrolled: 1-line block ×3, first 2 shown]
	v_add_f64 v[45:46], v[108:109], v[45:46]
	v_add_f64 v[132:133], v[114:115], v[132:133]
	;; [unrolled: 1-line block ×3, first 2 shown]
	s_waitcnt lgkmcnt(1)
	v_add_f64 v[102:103], v[20:21], v[94:95]
	s_waitcnt lgkmcnt(0)
	v_add_f64 v[148:149], v[94:95], -v[98:99]
	v_add_f64 v[150:151], v[98:99], -v[94:95]
	;; [unrolled: 1-line block ×4, first 2 shown]
	v_add_f64 v[114:115], v[110:111], v[130:131]
	v_add_f64 v[140:141], v[102:103], v[98:99]
	;; [unrolled: 1-line block ×4, first 2 shown]
	ds_read_b128 v[102:105], v44 offset:29808
	s_waitcnt lgkmcnt(0)
	v_add_f64 v[144:145], v[98:99], v[102:103]
	v_add_f64 v[146:147], v[100:101], -v[104:105]
	v_add_f64 v[152:153], v[100:101], v[104:105]
	v_add_f64 v[154:155], v[98:99], -v[102:103]
	ds_read_b128 v[98:101], v44 offset:37584
	s_waitcnt lgkmcnt(0)
	s_barrier
	v_fma_f64 v[144:145], v[144:145], -0.5, v[20:21]
	v_add_f64 v[160:161], v[96:97], -v[100:101]
	v_add_f64 v[163:164], v[94:95], v[98:99]
	v_add_f64 v[165:166], v[94:95], -v[98:99]
	v_add_f64 v[94:95], v[96:97], v[100:101]
	v_add_f64 v[96:97], v[140:141], v[102:103]
	;; [unrolled: 1-line block ×3, first 2 shown]
	v_add_f64 v[142:143], v[98:99], -v[102:103]
	v_add_f64 v[167:168], v[102:103], -v[98:99]
	v_fma_f64 v[152:153], v[152:153], -0.5, v[22:23]
	v_add_f64 v[102:103], v[100:101], -v[104:105]
	v_add_f64 v[169:170], v[104:105], -v[100:101]
	v_fma_f64 v[120:121], v[94:95], -0.5, v[22:23]
	v_add_f64 v[96:97], v[96:97], v[98:99]
	v_add_f64 v[98:99], v[140:141], v[100:101]
	v_fma_f64 v[140:141], v[106:107], -0.5, v[0:1]
	v_fma_f64 v[0:1], v[118:119], -0.5, v[0:1]
	;; [unrolled: 1-line block ×3, first 2 shown]
	v_fma_f64 v[100:101], v[165:166], s[20:21], v[152:153]
	v_add_f64 v[134:135], v[158:159], v[169:170]
	v_add_f64 v[130:131], v[150:151], v[167:168]
	v_add_f64 v[20:21], v[136:137], v[96:97]
	v_add_f64 v[22:23], v[138:139], v[98:99]
	v_add_f64 v[94:95], v[136:137], -v[96:97]
	v_add_f64 v[96:97], v[138:139], -v[98:99]
	v_fma_f64 v[98:99], v[160:161], s[16:17], v[144:145]
	v_add_f64 v[136:137], v[148:149], v[142:143]
	v_add_f64 v[138:139], v[156:157], v[102:103]
	v_fma_f64 v[100:101], v[154:155], s[24:25], v[100:101]
	v_fma_f64 v[98:99], v[146:147], s[18:19], v[98:99]
	;; [unrolled: 1-line block ×4, first 2 shown]
	v_mul_f64 v[102:103], v[98:99], s[30:31]
	v_mul_f64 v[98:99], v[98:99], s[24:25]
	v_fma_f64 v[102:103], v[100:101], s[18:19], v[102:103]
	v_fma_f64 v[104:105], v[100:101], s[30:31], v[98:99]
	v_fma_f64 v[98:99], v[126:127], s[16:17], v[140:141]
	v_fma_f64 v[100:101], v[128:129], s[20:21], v[171:172]
	v_fma_f64 v[98:99], v[122:123], s[18:19], v[98:99]
	v_fma_f64 v[100:101], v[124:125], s[24:25], v[100:101]
	v_fma_f64 v[106:107], v[45:46], s[22:23], v[98:99]
	v_fma_f64 v[108:109], v[132:133], s[22:23], v[100:101]
	v_add_f64 v[98:99], v[106:107], v[102:103]
	v_add_f64 v[102:103], v[106:107], -v[102:103]
	v_fma_f64 v[106:107], v[154:155], s[16:17], v[120:121]
	v_add_f64 v[100:101], v[108:109], v[104:105]
	v_add_f64 v[104:105], v[108:109], -v[104:105]
	v_fma_f64 v[108:109], v[146:147], s[20:21], v[118:119]
	v_fma_f64 v[106:107], v[165:166], s[24:25], v[106:107]
	;; [unrolled: 1-line block ×5, first 2 shown]
	v_mul_f64 v[110:111], v[106:107], s[16:17]
	v_fma_f64 v[110:111], v[108:109], s[22:23], v[110:111]
	v_mul_f64 v[108:109], v[108:109], s[20:21]
	v_fma_f64 v[112:113], v[106:107], s[22:23], v[108:109]
	v_fma_f64 v[106:107], v[122:123], s[20:21], v[0:1]
	;; [unrolled: 1-line block ×15, first 2 shown]
	v_add_f64 v[106:107], v[142:143], v[110:111]
	v_add_f64 v[110:111], v[142:143], -v[110:111]
	v_fma_f64 v[114:115], v[160:161], s[24:25], v[114:115]
	v_add_f64 v[108:109], v[148:149], v[112:113]
	v_add_f64 v[112:113], v[148:149], -v[112:113]
	v_fma_f64 v[116:117], v[165:166], s[18:19], v[116:117]
	v_fma_f64 v[114:115], v[130:131], s[22:23], v[114:115]
	;; [unrolled: 1-line block ×3, first 2 shown]
	v_mul_f64 v[118:119], v[114:115], s[28:29]
	v_fma_f64 v[118:119], v[116:117], s[16:17], v[118:119]
	v_mul_f64 v[116:117], v[116:117], s[28:29]
	v_fma_f64 v[120:121], v[114:115], s[20:21], v[116:117]
	v_add_f64 v[114:115], v[0:1], v[118:119]
	v_add_f64 v[118:119], v[0:1], -v[118:119]
	v_fma_f64 v[0:1], v[160:161], s[20:21], v[144:145]
	v_add_f64 v[116:117], v[2:3], v[120:121]
	v_add_f64 v[120:121], v[2:3], -v[120:121]
	v_fma_f64 v[2:3], v[126:127], s[20:21], v[140:141]
	v_fma_f64 v[126:127], v[128:129], s[16:17], v[171:172]
	;; [unrolled: 1-line block ×11, first 2 shown]
	v_mul_f64 v[124:125], v[0:1], s[26:27]
	v_fma_f64 v[124:125], v[122:123], s[18:19], v[124:125]
	v_mul_f64 v[122:123], v[122:123], s[26:27]
	v_add_f64 v[126:127], v[2:3], v[124:125]
	v_fma_f64 v[0:1], v[0:1], s[24:25], v[122:123]
	v_add_f64 v[130:131], v[2:3], -v[124:125]
	v_add_co_u32_e64 v3, s[0:1], s6, v255
	v_add_co_u32_e64 v2, s[2:3], s2, v255
	s_movk_i32 s2, 0xcd
	s_movk_i32 s6, 0x144
	v_add_f64 v[128:129], v[45:46], v[0:1]
	v_add_f64 v[132:133], v[45:46], -v[0:1]
	v_mul_lo_u16_e32 v0, 10, v255
	v_lshlrev_b32_e32 v253, 4, v0
	v_mul_u32_u24_e32 v0, 10, v3
	v_lshlrev_b32_e32 v254, 4, v0
	v_mul_u32_u24_e32 v0, 10, v2
	v_lshlrev_b32_e32 v252, 4, v0
	v_mul_lo_u16_sdwa v0, v255, s2 dst_sel:DWORD dst_unused:UNUSED_PAD src0_sel:BYTE_0 src1_sel:DWORD
	v_lshrrev_b16_e32 v0, 11, v0
	v_mul_lo_u16_e32 v1, 10, v0
	v_sub_u16_e32 v1, v255, v1
	v_and_b32_e32 v1, 0xff, v1
	ds_write_b128 v253, v[4:7]
	ds_write_b128 v253, v[16:19] offset:16
	v_lshlrev_b32_e32 v4, 5, v1
	ds_write_b128 v253, v[8:11] offset:32
	ds_write_b128 v253, v[12:15] offset:48
	;; [unrolled: 1-line block ×8, first 2 shown]
	ds_write_b128 v254, v[48:51]
	ds_write_b128 v254, v[64:67] offset:16
	ds_write_b128 v254, v[60:63] offset:32
	;; [unrolled: 1-line block ×9, first 2 shown]
	ds_write_b128 v252, v[20:23]
	ds_write_b128 v252, v[98:101] offset:16
	ds_write_b128 v252, v[106:109] offset:32
	;; [unrolled: 1-line block ×9, first 2 shown]
	s_waitcnt lgkmcnt(0)
	s_barrier
	global_load_dwordx4 v[70:73], v4, s[14:15]
	global_load_dwordx4 v[66:69], v4, s[14:15] offset:16
	v_mul_lo_u16_sdwa v4, v3, s2 dst_sel:DWORD dst_unused:UNUSED_PAD src0_sel:BYTE_0 src1_sel:DWORD
	v_lshrrev_b16_e32 v4, 11, v4
	v_mul_lo_u16_e32 v5, 10, v4
	v_sub_u16_e32 v5, v3, v5
	v_and_b32_e32 v5, 0xff, v5
	v_lshlrev_b32_e32 v6, 5, v5
	global_load_dwordx4 v[74:77], v6, s[14:15] offset:16
	global_load_dwordx4 v[78:81], v6, s[14:15]
	v_mul_lo_u16_sdwa v6, v2, s2 dst_sel:DWORD dst_unused:UNUSED_PAD src0_sel:BYTE_0 src1_sel:DWORD
	v_lshrrev_b16_e32 v6, 11, v6
	v_mul_lo_u16_e32 v7, 10, v6
	v_sub_u16_e32 v7, v2, v7
	v_and_b32_e32 v7, 0xff, v7
	v_lshlrev_b32_e32 v8, 5, v7
	global_load_dwordx4 v[90:93], v8, s[14:15]
	global_load_dwordx4 v[82:85], v8, s[14:15] offset:16
	v_mul_u32_u24_sdwa v8, v47, s7 dst_sel:DWORD dst_unused:UNUSED_PAD src0_sel:WORD_0 src1_sel:DWORD
	v_lshrrev_b32_e32 v8, 19, v8
	v_mul_lo_u16_e32 v9, 10, v8
	v_sub_u16_e32 v9, v47, v9
	v_lshlrev_b16_e32 v10, 1, v9
	v_lshlrev_b32_e32 v10, 4, v10
	v_add_co_u32_e64 v34, s[2:3], s6, v255
	global_load_dwordx4 v[98:101], v10, s[14:15]
	global_load_dwordx4 v[94:97], v10, s[14:15] offset:16
	v_mul_u32_u24_sdwa v10, v34, s7 dst_sel:DWORD dst_unused:UNUSED_PAD src0_sel:WORD_0 src1_sel:DWORD
	v_lshrrev_b32_e32 v10, 19, v10
	v_mul_lo_u16_e32 v11, 10, v10
	v_sub_u16_e32 v11, v34, v11
	v_lshlrev_b16_e32 v12, 1, v11
	s_movk_i32 s2, 0x195
	v_lshlrev_b32_e32 v12, 4, v12
	v_add_co_u32_e64 v33, s[2:3], s2, v255
	global_load_dwordx4 v[106:109], v12, s[14:15]
	global_load_dwordx4 v[102:105], v12, s[14:15] offset:16
	v_mul_u32_u24_sdwa v12, v33, s7 dst_sel:DWORD dst_unused:UNUSED_PAD src0_sel:WORD_0 src1_sel:DWORD
	v_lshrrev_b32_e32 v12, 19, v12
	v_mul_lo_u16_e32 v13, 10, v12
	v_sub_u16_e32 v13, v33, v13
	v_lshlrev_b16_e32 v14, 1, v13
	v_lshlrev_b32_e32 v14, 4, v14
	global_load_dwordx4 v[114:117], v14, s[14:15]
	global_load_dwordx4 v[110:113], v14, s[14:15] offset:16
	ds_read_b128 v[14:17], v44 offset:12960
	ds_read_b128 v[18:21], v44 offset:25920
	;; [unrolled: 1-line block ×5, first 2 shown]
	s_waitcnt vmcnt(11)
	buffer_store_dword v70, off, s[40:43], 0 offset:632 ; 4-byte Folded Spill
	s_nop 0
	buffer_store_dword v71, off, s[40:43], 0 offset:636 ; 4-byte Folded Spill
	buffer_store_dword v72, off, s[40:43], 0 offset:640 ; 4-byte Folded Spill
	;; [unrolled: 1-line block ×3, first 2 shown]
	ds_read_b128 v[39:42], v44 offset:28512
	ds_read_b128 v[48:51], v44 offset:16848
	s_waitcnt vmcnt(14)
	buffer_store_dword v66, off, s[40:43], 0 offset:584 ; 4-byte Folded Spill
	s_nop 0
	buffer_store_dword v67, off, s[40:43], 0 offset:588 ; 4-byte Folded Spill
	buffer_store_dword v68, off, s[40:43], 0 offset:592 ; 4-byte Folded Spill
	;; [unrolled: 1-line block ×3, first 2 shown]
	ds_read_b128 v[52:55], v44 offset:29808
	ds_read_b128 v[56:59], v44 offset:18144
	s_waitcnt vmcnt(16)
	buffer_store_dword v78, off, s[40:43], 0 offset:616 ; 4-byte Folded Spill
	s_nop 0
	buffer_store_dword v79, off, s[40:43], 0 offset:620 ; 4-byte Folded Spill
	buffer_store_dword v80, off, s[40:43], 0 offset:624 ; 4-byte Folded Spill
	;; [unrolled: 1-line block ×4, first 2 shown]
	s_nop 0
	buffer_store_dword v75, off, s[40:43], 0 offset:604 ; 4-byte Folded Spill
	buffer_store_dword v76, off, s[40:43], 0 offset:608 ; 4-byte Folded Spill
	buffer_store_dword v77, off, s[40:43], 0 offset:612 ; 4-byte Folded Spill
	s_waitcnt vmcnt(23)
	buffer_store_dword v90, off, s[40:43], 0 offset:568 ; 4-byte Folded Spill
	s_nop 0
	buffer_store_dword v91, off, s[40:43], 0 offset:572 ; 4-byte Folded Spill
	buffer_store_dword v92, off, s[40:43], 0 offset:576 ; 4-byte Folded Spill
	buffer_store_dword v93, off, s[40:43], 0 offset:580 ; 4-byte Folded Spill
	s_waitcnt vmcnt(26)
	buffer_store_dword v82, off, s[40:43], 0 offset:536 ; 4-byte Folded Spill
	;; [unrolled: 6-line block ×4, first 2 shown]
	s_nop 0
	buffer_store_dword v95, off, s[40:43], 0 offset:524 ; 4-byte Folded Spill
	buffer_store_dword v96, off, s[40:43], 0 offset:528 ; 4-byte Folded Spill
	;; [unrolled: 1-line block ×3, first 2 shown]
	s_movk_i32 s2, 0x1e6
	s_mov_b32 s6, s12
	v_mul_u32_u24_e32 v0, 30, v0
	v_add_lshl_u32 v0, v0, v1, 4
	s_waitcnt lgkmcnt(8)
	v_mul_f64 v[30:31], v[16:17], v[72:73]
	v_mul_f64 v[45:46], v[14:15], v[72:73]
	s_waitcnt lgkmcnt(7)
	v_mul_f64 v[60:61], v[20:21], v[68:69]
	v_mul_f64 v[62:63], v[18:19], v[68:69]
	v_fma_f64 v[30:31], v[14:15], v[70:71], -v[30:31]
	s_waitcnt lgkmcnt(6)
	v_mul_f64 v[14:15], v[24:25], v[80:81]
	v_fma_f64 v[45:46], v[16:17], v[70:71], v[45:46]
	v_fma_f64 v[60:61], v[18:19], v[66:67], -v[60:61]
	v_fma_f64 v[62:63], v[20:21], v[66:67], v[62:63]
	s_waitcnt lgkmcnt(5)
	v_mul_f64 v[16:17], v[28:29], v[76:77]
	v_mul_f64 v[18:19], v[26:27], v[76:77]
	;; [unrolled: 1-line block ×3, first 2 shown]
	s_waitcnt lgkmcnt(4)
	v_mul_f64 v[20:21], v[37:38], v[92:93]
	v_fma_f64 v[66:67], v[22:23], v[78:79], -v[14:15]
	v_mul_f64 v[14:15], v[35:36], v[92:93]
	s_waitcnt lgkmcnt(3)
	v_mul_f64 v[22:23], v[41:42], v[84:85]
	v_fma_f64 v[68:69], v[26:27], v[74:75], -v[16:17]
	v_fma_f64 v[70:71], v[28:29], v[74:75], v[18:19]
	v_fma_f64 v[64:65], v[24:25], v[78:79], v[64:65]
	v_mul_f64 v[24:25], v[39:40], v[84:85]
	v_fma_f64 v[72:73], v[35:36], v[90:91], -v[20:21]
	v_fma_f64 v[74:75], v[37:38], v[90:91], v[14:15]
	ds_read_b128 v[14:17], v44 offset:31104
	s_waitcnt vmcnt(35)
	buffer_store_dword v106, off, s[40:43], 0 offset:504 ; 4-byte Folded Spill
	s_nop 0
	buffer_store_dword v107, off, s[40:43], 0 offset:508 ; 4-byte Folded Spill
	buffer_store_dword v108, off, s[40:43], 0 offset:512 ; 4-byte Folded Spill
	;; [unrolled: 1-line block ×3, first 2 shown]
	s_waitcnt lgkmcnt(3)
	v_mul_f64 v[18:19], v[50:51], v[100:101]
	v_mul_f64 v[20:21], v[48:49], v[100:101]
	v_fma_f64 v[76:77], v[39:40], v[82:83], -v[22:23]
	v_fma_f64 v[78:79], v[41:42], v[82:83], v[24:25]
	s_waitcnt vmcnt(38)
	buffer_store_dword v102, off, s[40:43], 0 offset:488 ; 4-byte Folded Spill
	s_nop 0
	buffer_store_dword v103, off, s[40:43], 0 offset:492 ; 4-byte Folded Spill
	buffer_store_dword v104, off, s[40:43], 0 offset:496 ; 4-byte Folded Spill
	buffer_store_dword v105, off, s[40:43], 0 offset:500 ; 4-byte Folded Spill
	s_waitcnt lgkmcnt(2)
	v_mul_f64 v[22:23], v[54:55], v[96:97]
	v_mul_f64 v[24:25], v[52:53], v[96:97]
	v_add_co_u32_e64 v38, s[2:3], s2, v255
	v_fma_f64 v[80:81], v[48:49], v[98:99], -v[18:19]
	v_fma_f64 v[82:83], v[50:51], v[98:99], v[20:21]
	s_movk_i32 s2, 0x237
	v_add_co_u32_e64 v37, s[2:3], s2, v255
	v_fma_f64 v[84:85], v[52:53], v[94:95], -v[22:23]
	v_fma_f64 v[86:87], v[54:55], v[94:95], v[24:25]
	s_movk_i32 s2, 0x288
	v_add_co_u32_e64 v36, s[2:3], s2, v255
	s_movk_i32 s2, 0x2d9
	v_add_co_u32_e64 v35, s[2:3], s2, v255
	v_add_f64 v[54:55], v[64:65], -v[70:71]
	s_movk_i32 s2, 0x89
	s_waitcnt lgkmcnt(1)
	v_mul_f64 v[18:19], v[58:59], v[108:109]
	v_mul_f64 v[20:21], v[56:57], v[108:109]
	s_waitcnt lgkmcnt(0)
	v_mul_f64 v[22:23], v[16:17], v[104:105]
	v_mul_f64 v[24:25], v[14:15], v[104:105]
	v_fma_f64 v[90:91], v[56:57], v[106:107], -v[18:19]
	v_fma_f64 v[92:93], v[58:59], v[106:107], v[20:21]
	ds_read_b128 v[18:21], v44 offset:19440
	s_waitcnt vmcnt(41)
	buffer_store_dword v114, off, s[40:43], 0 offset:652 ; 4-byte Folded Spill
	s_nop 0
	buffer_store_dword v115, off, s[40:43], 0 offset:656 ; 4-byte Folded Spill
	buffer_store_dword v116, off, s[40:43], 0 offset:660 ; 4-byte Folded Spill
	;; [unrolled: 1-line block ×3, first 2 shown]
	v_add_f64 v[58:59], v[66:67], -v[68:69]
	v_fma_f64 v[94:95], v[14:15], v[102:103], -v[22:23]
	v_fma_f64 v[96:97], v[16:17], v[102:103], v[24:25]
	s_waitcnt lgkmcnt(0)
	v_mul_f64 v[14:15], v[20:21], v[116:117]
	v_mul_f64 v[16:17], v[18:19], v[116:117]
	v_fma_f64 v[102:103], v[18:19], v[114:115], -v[14:15]
	v_fma_f64 v[104:105], v[20:21], v[114:115], v[16:17]
	ds_read_b128 v[14:17], v44 offset:32400
	s_waitcnt vmcnt(44)
	buffer_store_dword v110, off, s[40:43], 0 offset:668 ; 4-byte Folded Spill
	s_nop 0
	buffer_store_dword v111, off, s[40:43], 0 offset:672 ; 4-byte Folded Spill
	buffer_store_dword v112, off, s[40:43], 0 offset:676 ; 4-byte Folded Spill
	;; [unrolled: 1-line block ×3, first 2 shown]
	s_waitcnt lgkmcnt(0)
	v_mul_f64 v[18:19], v[16:17], v[112:113]
	v_fma_f64 v[106:107], v[14:15], v[110:111], -v[18:19]
	v_mul_f64 v[14:15], v[14:15], v[112:113]
	v_fma_f64 v[108:109], v[16:17], v[110:111], v[14:15]
	v_mul_u32_u24_sdwa v14, v38, s7 dst_sel:DWORD dst_unused:UNUSED_PAD src0_sel:WORD_0 src1_sel:DWORD
	v_lshrrev_b32_e32 v14, 19, v14
	v_mul_lo_u16_e32 v15, 10, v14
	v_sub_u16_e32 v15, v38, v15
	v_lshlrev_b16_e32 v16, 1, v15
	v_lshlrev_b32_e32 v22, 4, v16
	global_load_dwordx4 v[23:26], v22, s[14:15]
	s_waitcnt vmcnt(0)
	buffer_store_dword v23, off, s[40:43], 0 offset:720 ; 4-byte Folded Spill
	s_nop 0
	buffer_store_dword v24, off, s[40:43], 0 offset:724 ; 4-byte Folded Spill
	buffer_store_dword v25, off, s[40:43], 0 offset:728 ; 4-byte Folded Spill
	;; [unrolled: 1-line block ×3, first 2 shown]
	ds_read_b128 v[16:19], v44 offset:20736
	s_waitcnt lgkmcnt(0)
	v_mul_f64 v[20:21], v[18:19], v[25:26]
	v_fma_f64 v[114:115], v[16:17], v[23:24], -v[20:21]
	v_mul_f64 v[16:17], v[16:17], v[25:26]
	v_fma_f64 v[116:117], v[18:19], v[23:24], v[16:17]
	global_load_dwordx4 v[22:25], v22, s[14:15] offset:16
	s_waitcnt vmcnt(0)
	buffer_store_dword v22, off, s[40:43], 0 offset:736 ; 4-byte Folded Spill
	s_nop 0
	buffer_store_dword v23, off, s[40:43], 0 offset:740 ; 4-byte Folded Spill
	buffer_store_dword v24, off, s[40:43], 0 offset:744 ; 4-byte Folded Spill
	;; [unrolled: 1-line block ×3, first 2 shown]
	ds_read_b128 v[16:19], v44 offset:33696
	s_waitcnt lgkmcnt(0)
	v_mul_f64 v[20:21], v[18:19], v[24:25]
	v_fma_f64 v[118:119], v[16:17], v[22:23], -v[20:21]
	v_mul_f64 v[16:17], v[16:17], v[24:25]
	v_fma_f64 v[120:121], v[18:19], v[22:23], v[16:17]
	v_mul_u32_u24_sdwa v16, v37, s7 dst_sel:DWORD dst_unused:UNUSED_PAD src0_sel:WORD_0 src1_sel:DWORD
	v_lshrrev_b32_e32 v16, 19, v16
	v_mul_lo_u16_e32 v17, 10, v16
	v_sub_u16_e32 v17, v37, v17
	v_lshlrev_b16_e32 v18, 1, v17
	v_lshlrev_b32_e32 v24, 4, v18
	global_load_dwordx4 v[25:28], v24, s[14:15]
	s_waitcnt vmcnt(0)
	buffer_store_dword v25, off, s[40:43], 0 offset:788 ; 4-byte Folded Spill
	s_nop 0
	buffer_store_dword v26, off, s[40:43], 0 offset:792 ; 4-byte Folded Spill
	buffer_store_dword v27, off, s[40:43], 0 offset:796 ; 4-byte Folded Spill
	;; [unrolled: 1-line block ×3, first 2 shown]
	ds_read_b128 v[18:21], v44 offset:22032
	s_waitcnt lgkmcnt(0)
	v_mul_f64 v[22:23], v[20:21], v[27:28]
	v_fma_f64 v[122:123], v[18:19], v[25:26], -v[22:23]
	v_mul_f64 v[18:19], v[18:19], v[27:28]
	v_fma_f64 v[124:125], v[20:21], v[25:26], v[18:19]
	global_load_dwordx4 v[24:27], v24, s[14:15] offset:16
	s_waitcnt vmcnt(0)
	buffer_store_dword v24, off, s[40:43], 0 offset:804 ; 4-byte Folded Spill
	s_nop 0
	buffer_store_dword v25, off, s[40:43], 0 offset:808 ; 4-byte Folded Spill
	buffer_store_dword v26, off, s[40:43], 0 offset:812 ; 4-byte Folded Spill
	buffer_store_dword v27, off, s[40:43], 0 offset:816 ; 4-byte Folded Spill
	ds_read_b128 v[18:21], v44 offset:34992
	s_waitcnt lgkmcnt(0)
	v_mul_f64 v[22:23], v[20:21], v[26:27]
	v_fma_f64 v[130:131], v[18:19], v[24:25], -v[22:23]
	v_mul_f64 v[18:19], v[18:19], v[26:27]
	v_fma_f64 v[132:133], v[20:21], v[24:25], v[18:19]
	v_mul_u32_u24_sdwa v18, v36, s7 dst_sel:DWORD dst_unused:UNUSED_PAD src0_sel:WORD_0 src1_sel:DWORD
	v_lshrrev_b32_e32 v18, 19, v18
	v_mul_lo_u16_e32 v19, 10, v18
	v_sub_u16_e32 v19, v36, v19
	v_lshlrev_b16_e32 v20, 1, v19
	v_lshlrev_b32_e32 v26, 4, v20
	global_load_dwordx4 v[39:42], v26, s[14:15]
	s_waitcnt vmcnt(0)
	buffer_store_dword v39, off, s[40:43], 0 offset:856 ; 4-byte Folded Spill
	s_nop 0
	buffer_store_dword v40, off, s[40:43], 0 offset:860 ; 4-byte Folded Spill
	buffer_store_dword v41, off, s[40:43], 0 offset:864 ; 4-byte Folded Spill
	;; [unrolled: 1-line block ×3, first 2 shown]
	global_load_dwordx4 v[26:29], v26, s[14:15] offset:16
	ds_read_b128 v[20:23], v44 offset:23328
	s_waitcnt vmcnt(0)
	buffer_store_dword v26, off, s[40:43], 0 offset:876 ; 4-byte Folded Spill
	s_nop 0
	buffer_store_dword v27, off, s[40:43], 0 offset:880 ; 4-byte Folded Spill
	buffer_store_dword v28, off, s[40:43], 0 offset:884 ; 4-byte Folded Spill
	;; [unrolled: 1-line block ×3, first 2 shown]
	s_waitcnt lgkmcnt(0)
	v_mul_f64 v[24:25], v[22:23], v[41:42]
	v_fma_f64 v[142:143], v[20:21], v[39:40], -v[24:25]
	v_mul_f64 v[20:21], v[20:21], v[41:42]
	v_fma_f64 v[144:145], v[22:23], v[39:40], v[20:21]
	ds_read_b128 v[20:23], v44 offset:36288
	s_waitcnt lgkmcnt(0)
	v_mul_f64 v[24:25], v[22:23], v[28:29]
	v_fma_f64 v[146:147], v[20:21], v[26:27], -v[24:25]
	v_mul_f64 v[20:21], v[20:21], v[28:29]
	v_fma_f64 v[148:149], v[22:23], v[26:27], v[20:21]
	v_mul_u32_u24_sdwa v20, v35, s7 dst_sel:DWORD dst_unused:UNUSED_PAD src0_sel:WORD_0 src1_sel:DWORD
	v_lshrrev_b32_e32 v20, 19, v20
	v_mul_lo_u16_e32 v21, 10, v20
	v_sub_u16_e32 v21, v35, v21
	v_lshlrev_b16_e32 v22, 1, v21
	v_lshlrev_b32_e32 v28, 4, v22
	global_load_dwordx4 v[39:42], v28, s[14:15]
	s_waitcnt vmcnt(0)
	buffer_store_dword v39, off, s[40:43], 0 offset:928 ; 4-byte Folded Spill
	s_nop 0
	buffer_store_dword v40, off, s[40:43], 0 offset:932 ; 4-byte Folded Spill
	buffer_store_dword v41, off, s[40:43], 0 offset:936 ; 4-byte Folded Spill
	;; [unrolled: 1-line block ×3, first 2 shown]
	ds_read_b128 v[22:25], v44 offset:24624
	s_mov_b32 s7, 0xbfebb67a
	s_waitcnt lgkmcnt(0)
	v_mul_f64 v[26:27], v[24:25], v[41:42]
	v_fma_f64 v[154:155], v[22:23], v[39:40], -v[26:27]
	v_mul_f64 v[22:23], v[22:23], v[41:42]
	v_fma_f64 v[156:157], v[24:25], v[39:40], v[22:23]
	global_load_dwordx4 v[39:42], v28, s[14:15] offset:16
	s_waitcnt vmcnt(0)
	buffer_store_dword v39, off, s[40:43], 0 offset:944 ; 4-byte Folded Spill
	s_nop 0
	buffer_store_dword v40, off, s[40:43], 0 offset:948 ; 4-byte Folded Spill
	buffer_store_dword v41, off, s[40:43], 0 offset:952 ; 4-byte Folded Spill
	;; [unrolled: 1-line block ×3, first 2 shown]
	ds_read_b128 v[22:25], v44 offset:37584
	ds_read_b128 v[48:51], v44 offset:1296
	;; [unrolled: 1-line block ×7, first 2 shown]
	buffer_store_dword v0, off, s[40:43], 0 offset:1164 ; 4-byte Folded Spill
	s_waitcnt lgkmcnt(6)
	v_mul_f64 v[26:27], v[24:25], v[41:42]
	v_fma_f64 v[158:159], v[22:23], v[39:40], -v[26:27]
	v_mul_f64 v[22:23], v[22:23], v[41:42]
	v_add_f64 v[26:27], v[30:31], v[60:61]
	v_fma_f64 v[160:161], v[24:25], v[39:40], v[22:23]
	ds_read_b128 v[22:25], v44
	v_add_f64 v[39:40], v[45:46], -v[62:63]
	s_waitcnt lgkmcnt(0)
	v_fma_f64 v[28:29], v[26:27], -0.5, v[22:23]
	v_add_f64 v[26:27], v[45:46], v[62:63]
	v_add_f64 v[22:23], v[22:23], v[30:31]
	v_add_f64 v[30:31], v[30:31], -v[60:61]
	v_fma_f64 v[41:42], v[26:27], -0.5, v[24:25]
	v_add_f64 v[24:25], v[24:25], v[45:46]
	v_fma_f64 v[26:27], v[39:40], s[12:13], v[28:29]
	v_fma_f64 v[39:40], v[39:40], s[6:7], v[28:29]
	v_add_f64 v[45:46], v[64:65], v[70:71]
	v_add_f64 v[22:23], v[22:23], v[60:61]
	v_fma_f64 v[28:29], v[30:31], s[6:7], v[41:42]
	v_fma_f64 v[41:42], v[30:31], s[12:13], v[41:42]
	v_add_f64 v[30:31], v[66:67], v[68:69]
	v_add_f64 v[24:25], v[24:25], v[62:63]
	v_fma_f64 v[45:46], v[45:46], -0.5, v[50:51]
	v_add_f64 v[50:51], v[50:51], v[64:65]
	ds_read_b128 v[60:63], v44 offset:2592
	v_fma_f64 v[30:31], v[30:31], -0.5, v[48:49]
	v_add_f64 v[48:49], v[48:49], v[66:67]
	v_add_f64 v[66:67], v[74:75], -v[78:79]
	v_add_f64 v[50:51], v[50:51], v[70:71]
	v_add_f64 v[70:71], v[72:73], -v[76:77]
	v_fma_f64 v[52:53], v[54:55], s[12:13], v[30:31]
	v_fma_f64 v[56:57], v[54:55], s[6:7], v[30:31]
	;; [unrolled: 1-line block ×4, first 2 shown]
	v_add_f64 v[30:31], v[72:73], v[76:77]
	v_add_f64 v[45:46], v[74:75], v[78:79]
	;; [unrolled: 1-line block ×3, first 2 shown]
	s_waitcnt lgkmcnt(0)
	v_fma_f64 v[30:31], v[30:31], -0.5, v[60:61]
	v_fma_f64 v[45:46], v[45:46], -0.5, v[62:63]
	v_add_f64 v[62:63], v[62:63], v[74:75]
	v_add_f64 v[60:61], v[60:61], v[72:73]
	ds_read_b128 v[72:75], v44 offset:3888
	v_fma_f64 v[64:65], v[66:67], s[12:13], v[30:31]
	v_fma_f64 v[68:69], v[66:67], s[6:7], v[30:31]
	;; [unrolled: 1-line block ×4, first 2 shown]
	v_add_f64 v[30:31], v[80:81], v[84:85]
	v_add_f64 v[45:46], v[82:83], v[86:87]
	;; [unrolled: 1-line block ×3, first 2 shown]
	v_add_f64 v[78:79], v[82:83], -v[86:87]
	v_add_f64 v[60:61], v[60:61], v[76:77]
	s_waitcnt lgkmcnt(0)
	v_fma_f64 v[30:31], v[30:31], -0.5, v[72:73]
	v_fma_f64 v[45:46], v[45:46], -0.5, v[74:75]
	v_add_f64 v[74:75], v[74:75], v[82:83]
	v_add_f64 v[82:83], v[80:81], -v[84:85]
	v_add_f64 v[72:73], v[72:73], v[80:81]
	v_fma_f64 v[76:77], v[78:79], s[12:13], v[30:31]
	v_fma_f64 v[80:81], v[78:79], s[6:7], v[30:31]
	v_add_f64 v[74:75], v[74:75], v[86:87]
	v_fma_f64 v[78:79], v[82:83], s[6:7], v[45:46]
	v_fma_f64 v[82:83], v[82:83], s[12:13], v[45:46]
	v_add_f64 v[45:46], v[92:93], v[96:97]
	v_add_f64 v[72:73], v[72:73], v[84:85]
	ds_read_b128 v[84:87], v44 offset:5184
	v_add_f64 v[30:31], v[90:91], v[94:95]
	s_waitcnt vmcnt(0) lgkmcnt(0)
	s_barrier
	ds_write_b128 v0, v[22:25]
	ds_write_b128 v0, v[26:29] offset:160
	ds_write_b128 v0, v[39:42] offset:320
	v_fma_f64 v[45:46], v[45:46], -0.5, v[86:87]
	v_add_f64 v[86:87], v[86:87], v[92:93]
	v_add_f64 v[92:93], v[92:93], -v[96:97]
	v_fma_f64 v[30:31], v[30:31], -0.5, v[84:85]
	v_add_f64 v[84:85], v[84:85], v[90:91]
	v_mul_u32_u24_e32 v0, 30, v4
	v_add_lshl_u32 v0, v0, v5, 4
	buffer_store_dword v0, off, s[40:43], 0 offset:1140 ; 4-byte Folded Spill
	ds_write_b128 v0, v[48:51]
	ds_write_b128 v0, v[52:55] offset:160
	ds_write_b128 v0, v[56:59] offset:320
	v_add_f64 v[86:87], v[86:87], v[96:97]
	v_add_f64 v[96:97], v[90:91], -v[94:95]
	v_fma_f64 v[90:91], v[92:93], s[12:13], v[30:31]
	v_add_f64 v[84:85], v[84:85], v[94:95]
	v_fma_f64 v[94:95], v[92:93], s[6:7], v[30:31]
	v_add_f64 v[30:31], v[102:103], v[106:107]
	v_mul_u32_u24_e32 v0, 30, v6
	v_add_lshl_u32 v0, v0, v7, 4
	buffer_store_dword v0, off, s[40:43], 0 offset:1068 ; 4-byte Folded Spill
	v_fma_f64 v[92:93], v[96:97], s[6:7], v[45:46]
	v_fma_f64 v[96:97], v[96:97], s[12:13], v[45:46]
	v_add_f64 v[45:46], v[104:105], v[108:109]
	ds_write_b128 v0, v[60:63]
	ds_write_b128 v0, v[64:67] offset:160
	ds_write_b128 v0, v[68:71] offset:320
	v_fma_f64 v[30:31], v[30:31], -0.5, v[98:99]
	v_add_f64 v[98:99], v[98:99], v[102:103]
	v_mad_legacy_u16 v0, v8, 30, v9
	v_lshlrev_b32_e32 v0, 4, v0
	buffer_store_dword v0, off, s[40:43], 0 offset:996 ; 4-byte Folded Spill
	ds_write_b128 v0, v[72:75]
	ds_write_b128 v0, v[76:79] offset:160
	ds_write_b128 v0, v[80:83] offset:320
	v_fma_f64 v[45:46], v[45:46], -0.5, v[100:101]
	v_add_f64 v[100:101], v[100:101], v[104:105]
	v_add_f64 v[104:105], v[104:105], -v[108:109]
	v_add_f64 v[98:99], v[98:99], v[106:107]
	v_mad_legacy_u16 v0, v10, 30, v11
	v_lshlrev_b32_e32 v0, 4, v0
	buffer_store_dword v0, off, s[40:43], 0 offset:924 ; 4-byte Folded Spill
	ds_write_b128 v0, v[84:87]
	ds_write_b128 v0, v[90:93] offset:160
	ds_write_b128 v0, v[94:97] offset:320
	v_mad_legacy_u16 v0, v12, 30, v13
	v_add_f64 v[100:101], v[100:101], v[108:109]
	v_add_f64 v[108:109], v[102:103], -v[106:107]
	v_fma_f64 v[102:103], v[104:105], s[12:13], v[30:31]
	v_fma_f64 v[106:107], v[104:105], s[6:7], v[30:31]
	v_add_f64 v[30:31], v[114:115], v[118:119]
	v_lshlrev_b32_e32 v0, 4, v0
	buffer_store_dword v0, off, s[40:43], 0 offset:872 ; 4-byte Folded Spill
	v_mov_b32_e32 v39, s15
	v_fma_f64 v[104:105], v[108:109], s[6:7], v[45:46]
	v_fma_f64 v[108:109], v[108:109], s[12:13], v[45:46]
	v_add_f64 v[45:46], v[116:117], v[120:121]
	v_fma_f64 v[30:31], v[30:31], -0.5, v[110:111]
	v_add_f64 v[110:111], v[110:111], v[114:115]
	ds_write_b128 v0, v[98:101]
	ds_write_b128 v0, v[102:105] offset:160
	ds_write_b128 v0, v[106:109] offset:320
	v_mad_legacy_u16 v0, v14, 30, v15
	v_lshlrev_b32_e32 v0, 4, v0
	v_fma_f64 v[45:46], v[45:46], -0.5, v[112:113]
	v_add_f64 v[112:113], v[112:113], v[116:117]
	v_add_f64 v[116:117], v[116:117], -v[120:121]
	v_add_f64 v[110:111], v[110:111], v[118:119]
	buffer_store_dword v0, off, s[40:43], 0 offset:820 ; 4-byte Folded Spill
	v_add_f64 v[112:113], v[112:113], v[120:121]
	v_add_f64 v[120:121], v[114:115], -v[118:119]
	v_fma_f64 v[114:115], v[116:117], s[12:13], v[30:31]
	v_fma_f64 v[118:119], v[116:117], s[6:7], v[30:31]
	v_add_f64 v[30:31], v[122:123], v[130:131]
	v_fma_f64 v[116:117], v[120:121], s[6:7], v[45:46]
	v_fma_f64 v[120:121], v[120:121], s[12:13], v[45:46]
	v_add_f64 v[45:46], v[124:125], v[132:133]
	v_fma_f64 v[30:31], v[30:31], -0.5, v[126:127]
	v_add_f64 v[126:127], v[126:127], v[122:123]
	v_add_f64 v[122:123], v[122:123], -v[130:131]
	ds_write_b128 v0, v[110:113]
	ds_write_b128 v0, v[114:117] offset:160
	ds_write_b128 v0, v[118:121] offset:320
	v_mad_legacy_u16 v0, v16, 30, v17
	v_lshlrev_b32_e32 v0, 4, v0
	v_fma_f64 v[45:46], v[45:46], -0.5, v[128:129]
	v_add_f64 v[128:129], v[128:129], v[124:125]
	v_add_f64 v[124:125], v[124:125], -v[132:133]
	v_add_f64 v[126:127], v[126:127], v[130:131]
	buffer_store_dword v0, off, s[40:43], 0 offset:752 ; 4-byte Folded Spill
	v_fma_f64 v[136:137], v[122:123], s[12:13], v[45:46]
	v_add_f64 v[128:129], v[128:129], v[132:133]
	v_fma_f64 v[130:131], v[124:125], s[12:13], v[30:31]
	v_fma_f64 v[134:135], v[124:125], s[6:7], v[30:31]
	;; [unrolled: 1-line block ×3, first 2 shown]
	v_add_f64 v[30:31], v[142:143], v[146:147]
	v_add_f64 v[45:46], v[144:145], v[148:149]
	;; [unrolled: 1-line block ×4, first 2 shown]
	v_add_f64 v[144:145], v[144:145], -v[148:149]
	ds_write_b128 v0, v[126:129]
	ds_write_b128 v0, v[130:133] offset:160
	ds_write_b128 v0, v[134:137] offset:320
	v_mad_legacy_u16 v0, v18, 30, v19
	v_fma_f64 v[30:31], v[30:31], -0.5, v[138:139]
	v_fma_f64 v[45:46], v[45:46], -0.5, v[140:141]
	v_add_f64 v[140:141], v[122:123], v[148:149]
	v_add_f64 v[122:123], v[142:143], -v[146:147]
	v_add_f64 v[138:139], v[124:125], v[146:147]
	v_add_f64 v[124:125], v[150:151], v[154:155]
	v_lshlrev_b32_e32 v0, 4, v0
	buffer_store_dword v0, off, s[40:43], 0 offset:700 ; 4-byte Folded Spill
	v_fma_f64 v[142:143], v[144:145], s[12:13], v[30:31]
	v_fma_f64 v[146:147], v[144:145], s[6:7], v[30:31]
	v_add_f64 v[30:31], v[154:155], v[158:159]
	v_fma_f64 v[144:145], v[122:123], s[6:7], v[45:46]
	v_fma_f64 v[148:149], v[122:123], s[12:13], v[45:46]
	v_add_f64 v[45:46], v[156:157], v[160:161]
	v_add_f64 v[122:123], v[152:153], v[156:157]
	v_add_f64 v[156:157], v[156:157], -v[160:161]
	ds_write_b128 v0, v[138:141]
	ds_write_b128 v0, v[142:145] offset:160
	ds_write_b128 v0, v[146:149] offset:320
	v_fma_f64 v[30:31], v[30:31], -0.5, v[150:151]
	v_add_f64 v[150:151], v[124:125], v[158:159]
	v_fma_f64 v[45:46], v[45:46], -0.5, v[152:153]
	v_add_f64 v[152:153], v[122:123], v[160:161]
	v_add_f64 v[122:123], v[154:155], -v[158:159]
	v_mad_legacy_u16 v0, v20, 30, v21
	v_lshlrev_b32_e32 v0, 4, v0
	buffer_store_dword v0, off, s[40:43], 0 offset:648 ; 4-byte Folded Spill
	v_fma_f64 v[154:155], v[156:157], s[12:13], v[30:31]
	v_fma_f64 v[158:159], v[156:157], s[6:7], v[30:31]
	;; [unrolled: 1-line block ×4, first 2 shown]
	ds_write_b128 v0, v[150:153]
	ds_write_b128 v0, v[154:157] offset:160
	ds_write_b128 v0, v[158:161] offset:320
	v_mul_lo_u16_sdwa v0, v255, s2 dst_sel:DWORD dst_unused:UNUSED_PAD src0_sel:BYTE_0 src1_sel:DWORD
	v_lshrrev_b16_e32 v0, 12, v0
	v_mul_lo_u16_e32 v1, 30, v0
	v_sub_u16_e32 v1, v255, v1
	v_and_b32_e32 v1, 0xff, v1
	v_lshlrev_b32_e32 v10, 5, v1
	s_waitcnt vmcnt(0) lgkmcnt(0)
	s_barrier
	global_load_dwordx4 v[11:14], v10, s[14:15] offset:320
	s_waitcnt vmcnt(0)
	buffer_store_dword v11, off, s[40:43], 0 offset:684 ; 4-byte Folded Spill
	s_nop 0
	buffer_store_dword v12, off, s[40:43], 0 offset:688 ; 4-byte Folded Spill
	buffer_store_dword v13, off, s[40:43], 0 offset:692 ; 4-byte Folded Spill
	;; [unrolled: 1-line block ×3, first 2 shown]
	ds_read_b128 v[4:7], v44 offset:12960
	v_mul_u32_u24_e32 v0, 0x5a, v0
	v_add_lshl_u32 v0, v0, v1, 4
	s_waitcnt lgkmcnt(0)
	v_mul_f64 v[8:9], v[6:7], v[13:14]
	v_fma_f64 v[26:27], v[4:5], v[11:12], -v[8:9]
	v_mul_f64 v[4:5], v[4:5], v[13:14]
	v_fma_f64 v[28:29], v[6:7], v[11:12], v[4:5]
	global_load_dwordx4 v[10:13], v10, s[14:15] offset:336
	s_waitcnt vmcnt(0)
	buffer_store_dword v10, off, s[40:43], 0 offset:704 ; 4-byte Folded Spill
	s_nop 0
	buffer_store_dword v11, off, s[40:43], 0 offset:708 ; 4-byte Folded Spill
	buffer_store_dword v12, off, s[40:43], 0 offset:712 ; 4-byte Folded Spill
	;; [unrolled: 1-line block ×3, first 2 shown]
	ds_read_b128 v[4:7], v44 offset:25920
	s_waitcnt lgkmcnt(0)
	v_mul_f64 v[8:9], v[6:7], v[12:13]
	v_fma_f64 v[30:31], v[4:5], v[10:11], -v[8:9]
	v_mul_f64 v[4:5], v[4:5], v[12:13]
	v_fma_f64 v[40:41], v[6:7], v[10:11], v[4:5]
	v_mul_lo_u16_sdwa v4, v3, s2 dst_sel:DWORD dst_unused:UNUSED_PAD src0_sel:BYTE_0 src1_sel:DWORD
	v_lshrrev_b16_e32 v4, 12, v4
	v_mul_lo_u16_e32 v5, 30, v4
	v_sub_u16_e32 v5, v3, v5
	v_and_b32_e32 v5, 0xff, v5
	v_lshlrev_b32_e32 v12, 5, v5
	global_load_dwordx4 v[13:16], v12, s[14:15] offset:320
	s_waitcnt vmcnt(0)
	buffer_store_dword v13, off, s[40:43], 0 offset:756 ; 4-byte Folded Spill
	s_nop 0
	buffer_store_dword v14, off, s[40:43], 0 offset:760 ; 4-byte Folded Spill
	buffer_store_dword v15, off, s[40:43], 0 offset:764 ; 4-byte Folded Spill
	;; [unrolled: 1-line block ×3, first 2 shown]
	ds_read_b128 v[6:9], v44 offset:14256
	s_waitcnt lgkmcnt(0)
	v_mul_f64 v[10:11], v[8:9], v[15:16]
	v_fma_f64 v[45:46], v[6:7], v[13:14], -v[10:11]
	v_mul_f64 v[6:7], v[6:7], v[15:16]
	v_fma_f64 v[52:53], v[8:9], v[13:14], v[6:7]
	global_load_dwordx4 v[12:15], v12, s[14:15] offset:336
	s_waitcnt vmcnt(0)
	buffer_store_dword v12, off, s[40:43], 0 offset:772 ; 4-byte Folded Spill
	s_nop 0
	buffer_store_dword v13, off, s[40:43], 0 offset:776 ; 4-byte Folded Spill
	buffer_store_dword v14, off, s[40:43], 0 offset:780 ; 4-byte Folded Spill
	;; [unrolled: 1-line block ×3, first 2 shown]
	ds_read_b128 v[6:9], v44 offset:27216
	s_waitcnt lgkmcnt(0)
	v_mul_f64 v[10:11], v[8:9], v[14:15]
	v_fma_f64 v[54:55], v[6:7], v[12:13], -v[10:11]
	v_mul_f64 v[6:7], v[6:7], v[14:15]
	v_fma_f64 v[56:57], v[8:9], v[12:13], v[6:7]
	v_mul_lo_u16_sdwa v6, v2, s2 dst_sel:DWORD dst_unused:UNUSED_PAD src0_sel:BYTE_0 src1_sel:DWORD
	v_lshrrev_b16_e32 v6, 12, v6
	v_mul_lo_u16_e32 v7, 30, v6
	v_sub_u16_e32 v7, v2, v7
	v_and_b32_e32 v7, 0xff, v7
	v_lshlrev_b32_e32 v14, 5, v7
	global_load_dwordx4 v[15:18], v14, s[14:15] offset:320
	s_waitcnt vmcnt(0)
	buffer_store_dword v15, off, s[40:43], 0 offset:824 ; 4-byte Folded Spill
	s_nop 0
	buffer_store_dword v16, off, s[40:43], 0 offset:828 ; 4-byte Folded Spill
	buffer_store_dword v17, off, s[40:43], 0 offset:832 ; 4-byte Folded Spill
	buffer_store_dword v18, off, s[40:43], 0 offset:836 ; 4-byte Folded Spill
	ds_read_b128 v[8:11], v44 offset:15552
	s_waitcnt lgkmcnt(0)
	v_mul_f64 v[12:13], v[10:11], v[17:18]
	v_fma_f64 v[64:65], v[8:9], v[15:16], -v[12:13]
	v_mul_f64 v[8:9], v[8:9], v[17:18]
	v_fma_f64 v[66:67], v[10:11], v[15:16], v[8:9]
	global_load_dwordx4 v[14:17], v14, s[14:15] offset:336
	s_waitcnt vmcnt(0)
	buffer_store_dword v14, off, s[40:43], 0 offset:840 ; 4-byte Folded Spill
	s_nop 0
	buffer_store_dword v15, off, s[40:43], 0 offset:844 ; 4-byte Folded Spill
	buffer_store_dword v16, off, s[40:43], 0 offset:848 ; 4-byte Folded Spill
	buffer_store_dword v17, off, s[40:43], 0 offset:852 ; 4-byte Folded Spill
	ds_read_b128 v[8:11], v44 offset:28512
	s_waitcnt lgkmcnt(0)
	v_mul_f64 v[12:13], v[10:11], v[16:17]
	v_fma_f64 v[68:69], v[8:9], v[14:15], -v[12:13]
	v_mul_f64 v[8:9], v[8:9], v[16:17]
	v_fma_f64 v[70:71], v[10:11], v[14:15], v[8:9]
	v_mul_u32_u24_sdwa v8, v47, s37 dst_sel:DWORD dst_unused:UNUSED_PAD src0_sel:WORD_0 src1_sel:DWORD
	v_lshrrev_b32_e32 v8, 20, v8
	v_mul_lo_u16_e32 v9, 30, v8
	v_sub_u16_e32 v9, v47, v9
	v_lshlrev_b16_e32 v10, 5, v9
	v_add_co_u32_e64 v14, s[2:3], s14, v10
	v_addc_co_u32_e64 v15, s[2:3], 0, v39, s[2:3]
	global_load_dwordx4 v[18:21], v[14:15], off offset:320
	ds_read_b128 v[10:13], v44 offset:16848
	s_waitcnt vmcnt(0) lgkmcnt(0)
	v_mul_f64 v[16:17], v[12:13], v[20:21]
	v_fma_f64 v[76:77], v[10:11], v[18:19], -v[16:17]
	buffer_store_dword v18, off, s[40:43], 0 offset:892 ; 4-byte Folded Spill
	s_nop 0
	buffer_store_dword v19, off, s[40:43], 0 offset:896 ; 4-byte Folded Spill
	buffer_store_dword v20, off, s[40:43], 0 offset:900 ; 4-byte Folded Spill
	buffer_store_dword v21, off, s[40:43], 0 offset:904 ; 4-byte Folded Spill
	v_mul_f64 v[10:11], v[10:11], v[20:21]
	v_fma_f64 v[78:79], v[12:13], v[18:19], v[10:11]
	global_load_dwordx4 v[16:19], v[14:15], off offset:336
	s_waitcnt vmcnt(0)
	buffer_store_dword v16, off, s[40:43], 0 offset:908 ; 4-byte Folded Spill
	s_nop 0
	buffer_store_dword v17, off, s[40:43], 0 offset:912 ; 4-byte Folded Spill
	buffer_store_dword v18, off, s[40:43], 0 offset:916 ; 4-byte Folded Spill
	buffer_store_dword v19, off, s[40:43], 0 offset:920 ; 4-byte Folded Spill
	ds_read_b128 v[10:13], v44 offset:29808
	s_waitcnt lgkmcnt(0)
	v_mul_f64 v[14:15], v[12:13], v[18:19]
	v_fma_f64 v[80:81], v[10:11], v[16:17], -v[14:15]
	v_mul_f64 v[10:11], v[10:11], v[18:19]
	v_fma_f64 v[82:83], v[12:13], v[16:17], v[10:11]
	v_mul_u32_u24_sdwa v10, v34, s37 dst_sel:DWORD dst_unused:UNUSED_PAD src0_sel:WORD_0 src1_sel:DWORD
	v_lshrrev_b32_e32 v10, 20, v10
	v_mul_lo_u16_e32 v11, 30, v10
	v_sub_u16_e32 v11, v34, v11
	v_lshlrev_b16_e32 v12, 5, v11
	v_add_co_u32_e64 v16, s[2:3], s14, v12
	v_addc_co_u32_e64 v17, s[2:3], 0, v39, s[2:3]
	global_load_dwordx4 v[20:23], v[16:17], off offset:320
	ds_read_b128 v[12:15], v44 offset:18144
	s_waitcnt vmcnt(0) lgkmcnt(0)
	v_mul_f64 v[18:19], v[14:15], v[22:23]
	v_fma_f64 v[90:91], v[12:13], v[20:21], -v[18:19]
	buffer_store_dword v20, off, s[40:43], 0 offset:960 ; 4-byte Folded Spill
	s_nop 0
	buffer_store_dword v21, off, s[40:43], 0 offset:964 ; 4-byte Folded Spill
	buffer_store_dword v22, off, s[40:43], 0 offset:968 ; 4-byte Folded Spill
	buffer_store_dword v23, off, s[40:43], 0 offset:972 ; 4-byte Folded Spill
	v_mul_f64 v[12:13], v[12:13], v[22:23]
	v_fma_f64 v[92:93], v[14:15], v[20:21], v[12:13]
	global_load_dwordx4 v[18:21], v[16:17], off offset:336
	;; [unrolled: 32-line block ×3, first 2 shown]
	s_waitcnt vmcnt(0)
	buffer_store_dword v20, off, s[40:43], 0 offset:1052 ; 4-byte Folded Spill
	s_nop 0
	buffer_store_dword v21, off, s[40:43], 0 offset:1056 ; 4-byte Folded Spill
	buffer_store_dword v22, off, s[40:43], 0 offset:1060 ; 4-byte Folded Spill
	;; [unrolled: 1-line block ×3, first 2 shown]
	ds_read_b128 v[14:17], v44 offset:32400
	s_waitcnt lgkmcnt(0)
	v_mul_f64 v[18:19], v[16:17], v[22:23]
	v_fma_f64 v[106:107], v[14:15], v[20:21], -v[18:19]
	v_mul_f64 v[14:15], v[14:15], v[22:23]
	v_fma_f64 v[108:109], v[16:17], v[20:21], v[14:15]
	v_mul_u32_u24_sdwa v14, v38, s37 dst_sel:DWORD dst_unused:UNUSED_PAD src0_sel:WORD_0 src1_sel:DWORD
	v_lshrrev_b32_e32 v14, 20, v14
	v_mul_lo_u16_e32 v15, 30, v14
	v_sub_u16_e32 v15, v38, v15
	v_lshlrev_b16_e32 v16, 5, v15
	v_add_co_u32_e64 v20, s[2:3], s14, v16
	v_addc_co_u32_e64 v21, s[2:3], 0, v39, s[2:3]
	global_load_dwordx4 v[48:51], v[20:21], off offset:320
	ds_read_b128 v[16:19], v44 offset:20736
	s_waitcnt vmcnt(0) lgkmcnt(0)
	v_mul_f64 v[22:23], v[18:19], v[50:51]
	v_fma_f64 v[114:115], v[16:17], v[48:49], -v[22:23]
	buffer_store_dword v48, off, s[40:43], 0 offset:1076 ; 4-byte Folded Spill
	s_nop 0
	buffer_store_dword v49, off, s[40:43], 0 offset:1080 ; 4-byte Folded Spill
	buffer_store_dword v50, off, s[40:43], 0 offset:1084 ; 4-byte Folded Spill
	;; [unrolled: 1-line block ×3, first 2 shown]
	global_load_dwordx4 v[22:25], v[20:21], off offset:336
	s_waitcnt vmcnt(0)
	buffer_store_dword v22, off, s[40:43], 0 offset:1108 ; 4-byte Folded Spill
	s_nop 0
	buffer_store_dword v23, off, s[40:43], 0 offset:1112 ; 4-byte Folded Spill
	buffer_store_dword v24, off, s[40:43], 0 offset:1116 ; 4-byte Folded Spill
	;; [unrolled: 1-line block ×3, first 2 shown]
	v_mul_f64 v[16:17], v[16:17], v[50:51]
	v_fma_f64 v[116:117], v[18:19], v[48:49], v[16:17]
	ds_read_b128 v[16:19], v44 offset:33696
	s_waitcnt lgkmcnt(0)
	v_mul_f64 v[20:21], v[18:19], v[24:25]
	v_fma_f64 v[118:119], v[16:17], v[22:23], -v[20:21]
	v_mul_f64 v[16:17], v[16:17], v[24:25]
	v_fma_f64 v[120:121], v[18:19], v[22:23], v[16:17]
	v_mul_u32_u24_sdwa v16, v37, s37 dst_sel:DWORD dst_unused:UNUSED_PAD src0_sel:WORD_0 src1_sel:DWORD
	v_lshrrev_b32_e32 v16, 20, v16
	v_mul_lo_u16_e32 v17, 30, v16
	v_sub_u16_e32 v17, v37, v17
	v_lshlrev_b16_e32 v18, 5, v17
	v_add_co_u32_e64 v22, s[2:3], s14, v18
	v_addc_co_u32_e64 v23, s[2:3], 0, v39, s[2:3]
	global_load_dwordx4 v[48:51], v[22:23], off offset:320
	s_waitcnt vmcnt(0)
	buffer_store_dword v48, off, s[40:43], 0 offset:1168 ; 4-byte Folded Spill
	s_nop 0
	buffer_store_dword v49, off, s[40:43], 0 offset:1172 ; 4-byte Folded Spill
	buffer_store_dword v50, off, s[40:43], 0 offset:1176 ; 4-byte Folded Spill
	;; [unrolled: 1-line block ×3, first 2 shown]
	ds_read_b128 v[18:21], v44 offset:22032
	s_waitcnt lgkmcnt(0)
	v_mul_f64 v[24:25], v[20:21], v[50:51]
	v_fma_f64 v[122:123], v[18:19], v[48:49], -v[24:25]
	v_mul_f64 v[18:19], v[18:19], v[50:51]
	v_fma_f64 v[124:125], v[20:21], v[48:49], v[18:19]
	global_load_dwordx4 v[48:51], v[22:23], off offset:336
	s_waitcnt vmcnt(0)
	buffer_store_dword v48, off, s[40:43], 0 offset:1200 ; 4-byte Folded Spill
	s_nop 0
	buffer_store_dword v49, off, s[40:43], 0 offset:1204 ; 4-byte Folded Spill
	buffer_store_dword v50, off, s[40:43], 0 offset:1208 ; 4-byte Folded Spill
	;; [unrolled: 1-line block ×3, first 2 shown]
	ds_read_b128 v[18:21], v44 offset:34992
	s_waitcnt lgkmcnt(0)
	v_mul_f64 v[22:23], v[20:21], v[50:51]
	v_fma_f64 v[130:131], v[18:19], v[48:49], -v[22:23]
	v_mul_f64 v[18:19], v[18:19], v[50:51]
	v_fma_f64 v[132:133], v[20:21], v[48:49], v[18:19]
	v_mul_u32_u24_sdwa v18, v36, s37 dst_sel:DWORD dst_unused:UNUSED_PAD src0_sel:WORD_0 src1_sel:DWORD
	v_lshrrev_b32_e32 v18, 20, v18
	v_mul_lo_u16_e32 v19, 30, v18
	v_sub_u16_e32 v19, v36, v19
	v_lshlrev_b16_e32 v20, 5, v19
	v_add_co_u32_e64 v24, s[2:3], s14, v20
	v_addc_co_u32_e64 v25, s[2:3], 0, v39, s[2:3]
	global_load_dwordx4 v[48:51], v[24:25], off offset:320
	ds_read_b128 v[20:23], v44 offset:23328
	s_waitcnt vmcnt(0) lgkmcnt(0)
	v_mul_f64 v[42:43], v[22:23], v[50:51]
	v_fma_f64 v[142:143], v[20:21], v[48:49], -v[42:43]
	buffer_store_dword v48, off, s[40:43], 0 offset:1220 ; 4-byte Folded Spill
	s_nop 0
	buffer_store_dword v49, off, s[40:43], 0 offset:1224 ; 4-byte Folded Spill
	buffer_store_dword v50, off, s[40:43], 0 offset:1228 ; 4-byte Folded Spill
	;; [unrolled: 1-line block ×3, first 2 shown]
	v_mul_f64 v[20:21], v[20:21], v[50:51]
	v_fma_f64 v[144:145], v[22:23], v[48:49], v[20:21]
	global_load_dwordx4 v[48:51], v[24:25], off offset:336
	s_waitcnt vmcnt(0)
	buffer_store_dword v48, off, s[40:43], 0 offset:1252 ; 4-byte Folded Spill
	s_nop 0
	buffer_store_dword v49, off, s[40:43], 0 offset:1256 ; 4-byte Folded Spill
	buffer_store_dword v50, off, s[40:43], 0 offset:1260 ; 4-byte Folded Spill
	;; [unrolled: 1-line block ×3, first 2 shown]
	ds_read_b128 v[20:23], v44 offset:36288
	s_waitcnt lgkmcnt(0)
	v_mul_f64 v[24:25], v[22:23], v[50:51]
	v_fma_f64 v[146:147], v[20:21], v[48:49], -v[24:25]
	v_mul_f64 v[20:21], v[20:21], v[50:51]
	v_fma_f64 v[148:149], v[22:23], v[48:49], v[20:21]
	v_mul_u32_u24_sdwa v20, v35, s37 dst_sel:DWORD dst_unused:UNUSED_PAD src0_sel:WORD_0 src1_sel:DWORD
	v_lshrrev_b32_e32 v20, 20, v20
	v_mul_lo_u16_e32 v21, 30, v20
	v_sub_u16_e32 v21, v35, v21
	v_lshlrev_b16_e32 v22, 5, v21
	v_add_co_u32_e64 v42, s[2:3], s14, v22
	v_addc_co_u32_e64 v43, s[2:3], 0, v39, s[2:3]
	global_load_dwordx4 v[58:61], v[42:43], off offset:320
	ds_read_b128 v[22:25], v44 offset:24624
	s_movk_i32 s2, 0x5a
	s_waitcnt vmcnt(0) lgkmcnt(0)
	v_mul_f64 v[48:49], v[24:25], v[60:61]
	v_fma_f64 v[154:155], v[22:23], v[58:59], -v[48:49]
	buffer_store_dword v58, off, s[40:43], 0 offset:1304 ; 4-byte Folded Spill
	s_nop 0
	buffer_store_dword v59, off, s[40:43], 0 offset:1308 ; 4-byte Folded Spill
	buffer_store_dword v60, off, s[40:43], 0 offset:1312 ; 4-byte Folded Spill
	;; [unrolled: 1-line block ×3, first 2 shown]
	global_load_dwordx4 v[48:51], v[42:43], off offset:336
	s_waitcnt vmcnt(0)
	buffer_store_dword v48, off, s[40:43], 0 offset:1336 ; 4-byte Folded Spill
	s_nop 0
	buffer_store_dword v49, off, s[40:43], 0 offset:1340 ; 4-byte Folded Spill
	buffer_store_dword v50, off, s[40:43], 0 offset:1344 ; 4-byte Folded Spill
	;; [unrolled: 1-line block ×3, first 2 shown]
	v_mul_f64 v[22:23], v[22:23], v[60:61]
	ds_read_b128 v[72:75], v44 offset:3888
	v_add_f64 v[60:61], v[52:53], -v[56:57]
	ds_read_b128 v[84:87], v44 offset:5184
	ds_read_b128 v[98:101], v44 offset:6480
	;; [unrolled: 1-line block ×6, first 2 shown]
	v_fma_f64 v[156:157], v[24:25], v[58:59], v[22:23]
	ds_read_b128 v[22:25], v44 offset:37584
	v_add_f64 v[58:59], v[52:53], v[56:57]
	buffer_store_dword v0, off, s[40:43], 0 offset:1504 ; 4-byte Folded Spill
	s_waitcnt lgkmcnt(0)
	v_mul_f64 v[42:43], v[24:25], v[50:51]
	v_fma_f64 v[158:159], v[22:23], v[48:49], -v[42:43]
	v_mul_f64 v[22:23], v[22:23], v[50:51]
	v_add_f64 v[42:43], v[26:27], v[30:31]
	v_fma_f64 v[160:161], v[24:25], v[48:49], v[22:23]
	ds_read_b128 v[22:25], v44
	v_add_f64 v[48:49], v[28:29], v[40:41]
	s_waitcnt lgkmcnt(0)
	v_fma_f64 v[42:43], v[42:43], -0.5, v[22:23]
	v_add_f64 v[22:23], v[22:23], v[26:27]
	v_fma_f64 v[48:49], v[48:49], -0.5, v[24:25]
	v_add_f64 v[24:25], v[24:25], v[28:29]
	v_add_f64 v[28:29], v[28:29], -v[40:41]
	v_add_f64 v[22:23], v[22:23], v[30:31]
	v_add_f64 v[30:31], v[26:27], -v[30:31]
	v_add_f64 v[24:25], v[24:25], v[40:41]
	v_fma_f64 v[26:27], v[28:29], s[12:13], v[42:43]
	v_fma_f64 v[40:41], v[28:29], s[6:7], v[42:43]
	;; [unrolled: 1-line block ×4, first 2 shown]
	v_add_f64 v[30:31], v[45:46], v[54:55]
	ds_read_b128 v[48:51], v44 offset:1296
	s_waitcnt lgkmcnt(0)
	v_fma_f64 v[58:59], v[58:59], -0.5, v[50:51]
	v_add_f64 v[50:51], v[50:51], v[52:53]
	v_fma_f64 v[30:31], v[30:31], -0.5, v[48:49]
	v_add_f64 v[48:49], v[48:49], v[45:46]
	v_add_f64 v[45:46], v[45:46], -v[54:55]
	v_add_f64 v[50:51], v[50:51], v[56:57]
	v_fma_f64 v[52:53], v[60:61], s[12:13], v[30:31]
	v_add_f64 v[48:49], v[48:49], v[54:55]
	v_fma_f64 v[54:55], v[45:46], s[6:7], v[58:59]
	v_fma_f64 v[58:59], v[45:46], s[12:13], v[58:59]
	v_add_f64 v[45:46], v[66:67], v[70:71]
	v_fma_f64 v[56:57], v[60:61], s[6:7], v[30:31]
	ds_read_b128 v[60:63], v44 offset:2592
	v_add_f64 v[30:31], v[64:65], v[68:69]
	s_waitcnt vmcnt(0) lgkmcnt(0)
	s_barrier
	ds_write_b128 v0, v[22:25]
	ds_write_b128 v0, v[26:29] offset:480
	ds_write_b128 v0, v[40:43] offset:960
	v_fma_f64 v[45:46], v[45:46], -0.5, v[62:63]
	v_add_f64 v[62:63], v[62:63], v[66:67]
	v_add_f64 v[66:67], v[66:67], -v[70:71]
	v_fma_f64 v[30:31], v[30:31], -0.5, v[60:61]
	v_add_f64 v[60:61], v[60:61], v[64:65]
	v_mul_u32_u24_e32 v0, 0x5a, v4
	v_add_lshl_u32 v0, v0, v5, 4
	buffer_store_dword v0, off, s[40:43], 0 offset:1432 ; 4-byte Folded Spill
	ds_write_b128 v0, v[48:51]
	ds_write_b128 v0, v[52:55] offset:480
	ds_write_b128 v0, v[56:59] offset:960
	v_add_f64 v[62:63], v[62:63], v[70:71]
	v_add_f64 v[70:71], v[64:65], -v[68:69]
	v_fma_f64 v[64:65], v[66:67], s[12:13], v[30:31]
	v_add_f64 v[60:61], v[60:61], v[68:69]
	v_fma_f64 v[68:69], v[66:67], s[6:7], v[30:31]
	v_add_f64 v[30:31], v[76:77], v[80:81]
	v_mul_u32_u24_e32 v0, 0x5a, v6
	v_add_lshl_u32 v0, v0, v7, 4
	buffer_store_dword v0, off, s[40:43], 0 offset:1392 ; 4-byte Folded Spill
	v_fma_f64 v[66:67], v[70:71], s[6:7], v[45:46]
	v_fma_f64 v[70:71], v[70:71], s[12:13], v[45:46]
	v_add_f64 v[45:46], v[78:79], v[82:83]
	ds_write_b128 v0, v[60:63]
	ds_write_b128 v0, v[64:67] offset:480
	ds_write_b128 v0, v[68:71] offset:960
	v_fma_f64 v[30:31], v[30:31], -0.5, v[72:73]
	v_add_f64 v[72:73], v[72:73], v[76:77]
	v_fma_f64 v[45:46], v[45:46], -0.5, v[74:75]
	v_add_f64 v[74:75], v[74:75], v[78:79]
	v_add_f64 v[78:79], v[78:79], -v[82:83]
	v_mad_legacy_u16 v0, v8, s2, v9
	v_lshlrev_b32_e32 v0, 4, v0
	buffer_store_dword v0, off, s[40:43], 0 offset:1352 ; 4-byte Folded Spill
	v_lshlrev_b32_e32 v4, 5, v255
	v_add_f64 v[72:73], v[72:73], v[80:81]
	v_add_f64 v[74:75], v[74:75], v[82:83]
	v_add_f64 v[82:83], v[76:77], -v[80:81]
	v_fma_f64 v[76:77], v[78:79], s[12:13], v[30:31]
	v_fma_f64 v[80:81], v[78:79], s[6:7], v[30:31]
	v_add_f64 v[30:31], v[90:91], v[94:95]
	v_fma_f64 v[78:79], v[82:83], s[6:7], v[45:46]
	v_fma_f64 v[82:83], v[82:83], s[12:13], v[45:46]
	v_add_f64 v[45:46], v[92:93], v[96:97]
	v_fma_f64 v[30:31], v[30:31], -0.5, v[84:85]
	v_add_f64 v[84:85], v[84:85], v[90:91]
	ds_write_b128 v0, v[72:75]
	ds_write_b128 v0, v[76:79] offset:480
	ds_write_b128 v0, v[80:83] offset:960
	v_mad_legacy_u16 v0, v10, s2, v11
	v_lshlrev_b32_e32 v0, 4, v0
	v_fma_f64 v[45:46], v[45:46], -0.5, v[86:87]
	v_add_f64 v[86:87], v[86:87], v[92:93]
	v_add_f64 v[92:93], v[92:93], -v[96:97]
	v_add_f64 v[84:85], v[84:85], v[94:95]
	buffer_store_dword v0, off, s[40:43], 0 offset:1284 ; 4-byte Folded Spill
	v_add_f64 v[86:87], v[86:87], v[96:97]
	v_add_f64 v[96:97], v[90:91], -v[94:95]
	v_fma_f64 v[90:91], v[92:93], s[12:13], v[30:31]
	v_fma_f64 v[94:95], v[92:93], s[6:7], v[30:31]
	v_add_f64 v[30:31], v[102:103], v[106:107]
	v_fma_f64 v[92:93], v[96:97], s[6:7], v[45:46]
	v_fma_f64 v[96:97], v[96:97], s[12:13], v[45:46]
	v_add_f64 v[45:46], v[104:105], v[108:109]
	v_fma_f64 v[30:31], v[30:31], -0.5, v[98:99]
	v_add_f64 v[98:99], v[98:99], v[102:103]
	ds_write_b128 v0, v[84:87]
	ds_write_b128 v0, v[90:93] offset:480
	ds_write_b128 v0, v[94:97] offset:960
	v_mad_legacy_u16 v0, v12, s2, v13
	v_lshlrev_b32_e32 v0, 4, v0
	v_fma_f64 v[45:46], v[45:46], -0.5, v[100:101]
	v_add_f64 v[100:101], v[100:101], v[104:105]
	v_add_f64 v[104:105], v[104:105], -v[108:109]
	v_add_f64 v[98:99], v[98:99], v[106:107]
	buffer_store_dword v0, off, s[40:43], 0 offset:1216 ; 4-byte Folded Spill
	;; [unrolled: 20-line block ×3, first 2 shown]
	v_add_f64 v[112:113], v[112:113], v[120:121]
	v_add_f64 v[120:121], v[114:115], -v[118:119]
	v_fma_f64 v[114:115], v[116:117], s[12:13], v[30:31]
	v_fma_f64 v[118:119], v[116:117], s[6:7], v[30:31]
	v_add_f64 v[30:31], v[122:123], v[130:131]
	v_fma_f64 v[116:117], v[120:121], s[6:7], v[45:46]
	v_fma_f64 v[120:121], v[120:121], s[12:13], v[45:46]
	v_add_f64 v[45:46], v[124:125], v[132:133]
	v_fma_f64 v[30:31], v[30:31], -0.5, v[126:127]
	v_add_f64 v[126:127], v[126:127], v[122:123]
	v_add_f64 v[122:123], v[122:123], -v[130:131]
	ds_write_b128 v0, v[110:113]
	ds_write_b128 v0, v[114:117] offset:480
	ds_write_b128 v0, v[118:121] offset:960
	v_mad_legacy_u16 v0, v16, s2, v17
	v_lshlrev_b32_e32 v0, 4, v0
	v_fma_f64 v[45:46], v[45:46], -0.5, v[128:129]
	v_add_f64 v[128:129], v[128:129], v[124:125]
	v_add_f64 v[124:125], v[124:125], -v[132:133]
	v_add_f64 v[126:127], v[126:127], v[130:131]
	buffer_store_dword v0, off, s[40:43], 0 offset:1072 ; 4-byte Folded Spill
	v_fma_f64 v[136:137], v[122:123], s[12:13], v[45:46]
	v_add_f64 v[128:129], v[128:129], v[132:133]
	v_fma_f64 v[130:131], v[124:125], s[12:13], v[30:31]
	v_fma_f64 v[134:135], v[124:125], s[6:7], v[30:31]
	;; [unrolled: 1-line block ×3, first 2 shown]
	v_add_f64 v[30:31], v[142:143], v[146:147]
	v_add_f64 v[45:46], v[144:145], v[148:149]
	;; [unrolled: 1-line block ×4, first 2 shown]
	v_add_f64 v[144:145], v[144:145], -v[148:149]
	ds_write_b128 v0, v[126:129]
	ds_write_b128 v0, v[130:133] offset:480
	ds_write_b128 v0, v[134:137] offset:960
	v_mad_legacy_u16 v0, v18, s2, v19
	v_fma_f64 v[30:31], v[30:31], -0.5, v[138:139]
	v_fma_f64 v[45:46], v[45:46], -0.5, v[140:141]
	v_add_f64 v[140:141], v[122:123], v[148:149]
	v_add_f64 v[122:123], v[142:143], -v[146:147]
	v_add_f64 v[138:139], v[124:125], v[146:147]
	v_add_f64 v[124:125], v[150:151], v[154:155]
	v_lshlrev_b32_e32 v0, 4, v0
	buffer_store_dword v0, off, s[40:43], 0 offset:1032 ; 4-byte Folded Spill
	v_fma_f64 v[142:143], v[144:145], s[12:13], v[30:31]
	v_fma_f64 v[146:147], v[144:145], s[6:7], v[30:31]
	v_add_f64 v[30:31], v[154:155], v[158:159]
	v_fma_f64 v[144:145], v[122:123], s[6:7], v[45:46]
	v_fma_f64 v[148:149], v[122:123], s[12:13], v[45:46]
	v_add_f64 v[45:46], v[156:157], v[160:161]
	v_add_f64 v[122:123], v[152:153], v[156:157]
	v_add_f64 v[156:157], v[156:157], -v[160:161]
	ds_write_b128 v0, v[138:141]
	ds_write_b128 v0, v[142:145] offset:480
	ds_write_b128 v0, v[146:149] offset:960
	v_fma_f64 v[30:31], v[30:31], -0.5, v[150:151]
	v_add_f64 v[150:151], v[124:125], v[158:159]
	v_fma_f64 v[45:46], v[45:46], -0.5, v[152:153]
	v_add_f64 v[152:153], v[122:123], v[160:161]
	v_add_f64 v[122:123], v[154:155], -v[158:159]
	v_mad_legacy_u16 v0, v20, s2, v21
	v_lshlrev_b32_e32 v0, 4, v0
	buffer_store_dword v0, off, s[40:43], 0 offset:992 ; 4-byte Folded Spill
	v_fma_f64 v[154:155], v[156:157], s[12:13], v[30:31]
	v_fma_f64 v[158:159], v[156:157], s[6:7], v[30:31]
	v_cmp_gt_u16_e64 s[2:3], 9, v255
	v_fma_f64 v[156:157], v[122:123], s[6:7], v[45:46]
	v_fma_f64 v[160:161], v[122:123], s[12:13], v[45:46]
	ds_write_b128 v0, v[150:153]
	ds_write_b128 v0, v[154:157] offset:480
	ds_write_b128 v0, v[158:161] offset:960
	s_waitcnt vmcnt(0) lgkmcnt(0)
	s_barrier
	global_load_dwordx4 v[9:12], v4, s[14:15] offset:1280
	s_waitcnt vmcnt(0)
	buffer_store_dword v9, off, s[40:43], 0 offset:1000 ; 4-byte Folded Spill
	s_nop 0
	buffer_store_dword v10, off, s[40:43], 0 offset:1004 ; 4-byte Folded Spill
	buffer_store_dword v11, off, s[40:43], 0 offset:1008 ; 4-byte Folded Spill
	;; [unrolled: 1-line block ×3, first 2 shown]
	ds_read_b128 v[5:8], v44 offset:12960
	s_waitcnt lgkmcnt(0)
	v_mul_f64 v[0:1], v[7:8], v[11:12]
	v_fma_f64 v[23:24], v[5:6], v[9:10], -v[0:1]
	v_mul_f64 v[0:1], v[5:6], v[11:12]
	v_fma_f64 v[25:26], v[7:8], v[9:10], v[0:1]
	global_load_dwordx4 v[9:12], v4, s[14:15] offset:1296
	s_waitcnt vmcnt(0)
	buffer_store_dword v9, off, s[40:43], 0 offset:1016 ; 4-byte Folded Spill
	s_nop 0
	buffer_store_dword v10, off, s[40:43], 0 offset:1020 ; 4-byte Folded Spill
	buffer_store_dword v11, off, s[40:43], 0 offset:1024 ; 4-byte Folded Spill
	;; [unrolled: 1-line block ×3, first 2 shown]
	ds_read_b128 v[5:8], v44 offset:25920
	s_waitcnt lgkmcnt(0)
	v_mul_f64 v[0:1], v[7:8], v[11:12]
	v_fma_f64 v[27:28], v[5:6], v[9:10], -v[0:1]
	v_mul_f64 v[0:1], v[5:6], v[11:12]
	v_fma_f64 v[29:30], v[7:8], v[9:10], v[0:1]
	v_addc_co_u32_e64 v0, s[0:1], 0, 0, s[0:1]
	v_add_co_u32_e64 v5, s[0:1], -9, v255
	v_addc_co_u32_e64 v1, s[0:1], 0, -1, s[0:1]
	v_cndmask_b32_e64 v1, v1, v0, s[2:3]
	v_cndmask_b32_e64 v0, v5, v3, s[2:3]
	v_lshlrev_b64 v[5:6], 5, v[0:1]
	s_movk_i32 s2, 0x2d83
	v_add_co_u32_e64 v9, s[0:1], s14, v5
	v_addc_co_u32_e64 v10, s[0:1], v39, v6, s[0:1]
	global_load_dwordx4 v[13:16], v[9:10], off offset:1280
	ds_read_b128 v[5:8], v44 offset:14256
	s_movk_i32 s0, 0xb7
	v_mul_lo_u16_sdwa v1, v2, s0 dst_sel:DWORD dst_unused:UNUSED_PAD src0_sel:BYTE_0 src1_sel:DWORD
	v_lshrrev_b16_e32 v1, 14, v1
	s_movk_i32 s3, 0xffe5
	s_waitcnt vmcnt(0) lgkmcnt(0)
	v_mul_f64 v[11:12], v[7:8], v[15:16]
	v_fma_f64 v[31:32], v[5:6], v[13:14], -v[11:12]
	buffer_store_dword v13, off, s[40:43], 0 offset:1092 ; 4-byte Folded Spill
	s_nop 0
	buffer_store_dword v14, off, s[40:43], 0 offset:1096 ; 4-byte Folded Spill
	buffer_store_dword v15, off, s[40:43], 0 offset:1100 ; 4-byte Folded Spill
	;; [unrolled: 1-line block ×3, first 2 shown]
	v_mul_f64 v[5:6], v[5:6], v[15:16]
	v_fma_f64 v[45:46], v[7:8], v[13:14], v[5:6]
	global_load_dwordx4 v[11:14], v[9:10], off offset:1296
	s_waitcnt vmcnt(0)
	buffer_store_dword v11, off, s[40:43], 0 offset:1124 ; 4-byte Folded Spill
	s_nop 0
	buffer_store_dword v12, off, s[40:43], 0 offset:1128 ; 4-byte Folded Spill
	buffer_store_dword v13, off, s[40:43], 0 offset:1132 ; 4-byte Folded Spill
	;; [unrolled: 1-line block ×3, first 2 shown]
	ds_read_b128 v[5:8], v44 offset:27216
	s_waitcnt lgkmcnt(0)
	v_mul_f64 v[9:10], v[7:8], v[13:14]
	v_fma_f64 v[48:49], v[5:6], v[11:12], -v[9:10]
	v_mul_f64 v[5:6], v[5:6], v[13:14]
	v_fma_f64 v[50:51], v[7:8], v[11:12], v[5:6]
	v_mul_lo_u16_e32 v5, 0x5a, v1
	v_sub_u16_e32 v5, v2, v5
	v_and_b32_e32 v5, 0xff, v5
	v_lshlrev_b32_e32 v12, 5, v5
	global_load_dwordx4 v[13:16], v12, s[14:15] offset:1280
	s_waitcnt vmcnt(0)
	buffer_store_dword v13, off, s[40:43], 0 offset:1148 ; 4-byte Folded Spill
	s_nop 0
	buffer_store_dword v14, off, s[40:43], 0 offset:1152 ; 4-byte Folded Spill
	buffer_store_dword v15, off, s[40:43], 0 offset:1156 ; 4-byte Folded Spill
	buffer_store_dword v16, off, s[40:43], 0 offset:1160 ; 4-byte Folded Spill
	ds_read_b128 v[6:9], v44 offset:15552
	s_waitcnt lgkmcnt(0)
	v_mul_f64 v[10:11], v[8:9], v[15:16]
	v_fma_f64 v[60:61], v[6:7], v[13:14], -v[10:11]
	v_mul_f64 v[6:7], v[6:7], v[15:16]
	v_fma_f64 v[62:63], v[8:9], v[13:14], v[6:7]
	global_load_dwordx4 v[12:15], v12, s[14:15] offset:1296
	s_waitcnt vmcnt(0)
	buffer_store_dword v12, off, s[40:43], 0 offset:1184 ; 4-byte Folded Spill
	s_nop 0
	buffer_store_dword v13, off, s[40:43], 0 offset:1188 ; 4-byte Folded Spill
	buffer_store_dword v14, off, s[40:43], 0 offset:1192 ; 4-byte Folded Spill
	;; [unrolled: 1-line block ×3, first 2 shown]
	ds_read_b128 v[6:9], v44 offset:28512
	s_waitcnt lgkmcnt(0)
	v_mul_f64 v[10:11], v[8:9], v[14:15]
	v_fma_f64 v[64:65], v[6:7], v[12:13], -v[10:11]
	v_mul_f64 v[6:7], v[6:7], v[14:15]
	v_fma_f64 v[66:67], v[8:9], v[12:13], v[6:7]
	v_mul_u32_u24_sdwa v6, v47, s2 dst_sel:DWORD dst_unused:UNUSED_PAD src0_sel:WORD_0 src1_sel:DWORD
	v_lshrrev_b32_e32 v6, 20, v6
	v_mul_lo_u16_e32 v7, 0x5a, v6
	v_sub_u16_e32 v7, v47, v7
	v_lshlrev_b16_e32 v8, 5, v7
	v_add_co_u32_e64 v12, s[0:1], s14, v8
	v_addc_co_u32_e64 v13, s[0:1], 0, v39, s[0:1]
	global_load_dwordx4 v[16:19], v[12:13], off offset:1280
	ds_read_b128 v[8:11], v44 offset:16848
	s_waitcnt vmcnt(0) lgkmcnt(0)
	v_mul_f64 v[14:15], v[10:11], v[18:19]
	v_fma_f64 v[72:73], v[8:9], v[16:17], -v[14:15]
	buffer_store_dword v16, off, s[40:43], 0 offset:1236 ; 4-byte Folded Spill
	s_nop 0
	buffer_store_dword v17, off, s[40:43], 0 offset:1240 ; 4-byte Folded Spill
	buffer_store_dword v18, off, s[40:43], 0 offset:1244 ; 4-byte Folded Spill
	;; [unrolled: 1-line block ×3, first 2 shown]
	v_mul_f64 v[8:9], v[8:9], v[18:19]
	v_fma_f64 v[74:75], v[10:11], v[16:17], v[8:9]
	global_load_dwordx4 v[14:17], v[12:13], off offset:1296
	s_waitcnt vmcnt(0)
	buffer_store_dword v14, off, s[40:43], 0 offset:1268 ; 4-byte Folded Spill
	s_nop 0
	buffer_store_dword v15, off, s[40:43], 0 offset:1272 ; 4-byte Folded Spill
	buffer_store_dword v16, off, s[40:43], 0 offset:1276 ; 4-byte Folded Spill
	;; [unrolled: 1-line block ×3, first 2 shown]
	ds_read_b128 v[8:11], v44 offset:29808
	s_waitcnt lgkmcnt(0)
	v_mul_f64 v[12:13], v[10:11], v[16:17]
	v_fma_f64 v[76:77], v[8:9], v[14:15], -v[12:13]
	v_mul_f64 v[8:9], v[8:9], v[16:17]
	v_fma_f64 v[78:79], v[10:11], v[14:15], v[8:9]
	v_mul_u32_u24_sdwa v8, v34, s2 dst_sel:DWORD dst_unused:UNUSED_PAD src0_sel:WORD_0 src1_sel:DWORD
	v_lshrrev_b32_e32 v8, 20, v8
	v_mul_lo_u16_e32 v9, 0x5a, v8
	v_sub_u16_e32 v9, v34, v9
	v_lshlrev_b16_e32 v10, 5, v9
	v_add_co_u32_e64 v14, s[0:1], s14, v10
	v_addc_co_u32_e64 v15, s[0:1], 0, v39, s[0:1]
	global_load_dwordx4 v[18:21], v[14:15], off offset:1280
	ds_read_b128 v[10:13], v44 offset:18144
	s_waitcnt vmcnt(0) lgkmcnt(0)
	v_mul_f64 v[16:17], v[12:13], v[20:21]
	v_fma_f64 v[84:85], v[10:11], v[18:19], -v[16:17]
	buffer_store_dword v18, off, s[40:43], 0 offset:1288 ; 4-byte Folded Spill
	s_nop 0
	buffer_store_dword v19, off, s[40:43], 0 offset:1292 ; 4-byte Folded Spill
	buffer_store_dword v20, off, s[40:43], 0 offset:1296 ; 4-byte Folded Spill
	;; [unrolled: 1-line block ×3, first 2 shown]
	v_mul_f64 v[10:11], v[10:11], v[20:21]
	v_fma_f64 v[86:87], v[12:13], v[18:19], v[10:11]
	global_load_dwordx4 v[16:19], v[14:15], off offset:1296
	s_waitcnt vmcnt(0)
	buffer_store_dword v16, off, s[40:43], 0 offset:1320 ; 4-byte Folded Spill
	s_nop 0
	buffer_store_dword v17, off, s[40:43], 0 offset:1324 ; 4-byte Folded Spill
	buffer_store_dword v18, off, s[40:43], 0 offset:1328 ; 4-byte Folded Spill
	;; [unrolled: 1-line block ×3, first 2 shown]
	ds_read_b128 v[10:13], v44 offset:31104
	s_waitcnt lgkmcnt(0)
	v_mul_f64 v[14:15], v[12:13], v[18:19]
	v_fma_f64 v[90:91], v[10:11], v[16:17], -v[14:15]
	v_mul_f64 v[10:11], v[10:11], v[18:19]
	v_fma_f64 v[92:93], v[12:13], v[16:17], v[10:11]
	v_mul_u32_u24_sdwa v10, v33, s2 dst_sel:DWORD dst_unused:UNUSED_PAD src0_sel:WORD_0 src1_sel:DWORD
	v_lshrrev_b32_e32 v10, 20, v10
	v_mul_lo_u16_e32 v11, 0x5a, v10
	v_sub_u16_e32 v11, v33, v11
	v_lshlrev_b16_e32 v12, 5, v11
	v_add_co_u32_e64 v16, s[0:1], s14, v12
	v_addc_co_u32_e64 v17, s[0:1], 0, v39, s[0:1]
	global_load_dwordx4 v[40:43], v[16:17], off offset:1280
	ds_read_b128 v[12:15], v44 offset:19440
	s_waitcnt vmcnt(0) lgkmcnt(0)
	v_mul_f64 v[18:19], v[14:15], v[42:43]
	v_fma_f64 v[98:99], v[12:13], v[40:41], -v[18:19]
	buffer_store_dword v40, off, s[40:43], 0 offset:1360 ; 4-byte Folded Spill
	s_nop 0
	buffer_store_dword v41, off, s[40:43], 0 offset:1364 ; 4-byte Folded Spill
	buffer_store_dword v42, off, s[40:43], 0 offset:1368 ; 4-byte Folded Spill
	;; [unrolled: 1-line block ×3, first 2 shown]
	global_load_dwordx4 v[18:21], v[16:17], off offset:1296
	s_waitcnt vmcnt(0)
	buffer_store_dword v18, off, s[40:43], 0 offset:1376 ; 4-byte Folded Spill
	s_nop 0
	buffer_store_dword v19, off, s[40:43], 0 offset:1380 ; 4-byte Folded Spill
	buffer_store_dword v20, off, s[40:43], 0 offset:1384 ; 4-byte Folded Spill
	;; [unrolled: 1-line block ×3, first 2 shown]
	v_mul_f64 v[12:13], v[12:13], v[42:43]
	v_fma_f64 v[100:101], v[14:15], v[40:41], v[12:13]
	ds_read_b128 v[12:15], v44 offset:32400
	s_waitcnt lgkmcnt(0)
	v_mul_f64 v[16:17], v[14:15], v[20:21]
	v_fma_f64 v[102:103], v[12:13], v[18:19], -v[16:17]
	v_mul_f64 v[12:13], v[12:13], v[20:21]
	v_fma_f64 v[104:105], v[14:15], v[18:19], v[12:13]
	v_mul_u32_u24_sdwa v12, v38, s2 dst_sel:DWORD dst_unused:UNUSED_PAD src0_sel:WORD_0 src1_sel:DWORD
	v_lshrrev_b32_e32 v12, 20, v12
	v_mul_lo_u16_e32 v13, 0x5a, v12
	v_sub_u16_e32 v13, v38, v13
	v_lshlrev_b16_e32 v14, 5, v13
	v_add_co_u32_e64 v18, s[0:1], s14, v14
	v_addc_co_u32_e64 v19, s[0:1], 0, v39, s[0:1]
	global_load_dwordx4 v[40:43], v[18:19], off offset:1280
	ds_read_b128 v[14:17], v44 offset:20736
	s_waitcnt vmcnt(0) lgkmcnt(0)
	v_mul_f64 v[20:21], v[16:17], v[42:43]
	v_fma_f64 v[110:111], v[14:15], v[40:41], -v[20:21]
	buffer_store_dword v40, off, s[40:43], 0 offset:1436 ; 4-byte Folded Spill
	s_nop 0
	buffer_store_dword v41, off, s[40:43], 0 offset:1440 ; 4-byte Folded Spill
	buffer_store_dword v42, off, s[40:43], 0 offset:1444 ; 4-byte Folded Spill
	;; [unrolled: 1-line block ×3, first 2 shown]
	v_mul_f64 v[14:15], v[14:15], v[42:43]
	v_fma_f64 v[112:113], v[16:17], v[40:41], v[14:15]
	global_load_dwordx4 v[40:43], v[18:19], off offset:1296
	s_waitcnt vmcnt(0)
	buffer_store_dword v40, off, s[40:43], 0 offset:1452 ; 4-byte Folded Spill
	s_nop 0
	buffer_store_dword v41, off, s[40:43], 0 offset:1456 ; 4-byte Folded Spill
	buffer_store_dword v42, off, s[40:43], 0 offset:1460 ; 4-byte Folded Spill
	;; [unrolled: 1-line block ×3, first 2 shown]
	ds_read_b128 v[14:17], v44 offset:33696
	s_waitcnt lgkmcnt(0)
	v_mul_f64 v[18:19], v[16:17], v[42:43]
	v_fma_f64 v[114:115], v[14:15], v[40:41], -v[18:19]
	v_mul_f64 v[14:15], v[14:15], v[42:43]
	v_fma_f64 v[116:117], v[16:17], v[40:41], v[14:15]
	v_mul_u32_u24_sdwa v14, v37, s2 dst_sel:DWORD dst_unused:UNUSED_PAD src0_sel:WORD_0 src1_sel:DWORD
	v_lshrrev_b32_e32 v14, 20, v14
	v_mul_lo_u16_e32 v15, 0x5a, v14
	v_sub_u16_e32 v15, v37, v15
	v_lshlrev_b16_e32 v16, 5, v15
	v_add_co_u32_e64 v20, s[0:1], s14, v16
	v_addc_co_u32_e64 v21, s[0:1], 0, v39, s[0:1]
	global_load_dwordx4 v[52:55], v[20:21], off offset:1280
	ds_read_b128 v[16:19], v44 offset:22032
	s_waitcnt vmcnt(0) lgkmcnt(0)
	v_mul_f64 v[40:41], v[18:19], v[54:55]
	v_fma_f64 v[122:123], v[16:17], v[52:53], -v[40:41]
	buffer_store_dword v52, off, s[40:43], 0 offset:1508 ; 4-byte Folded Spill
	s_nop 0
	buffer_store_dword v53, off, s[40:43], 0 offset:1512 ; 4-byte Folded Spill
	buffer_store_dword v54, off, s[40:43], 0 offset:1516 ; 4-byte Folded Spill
	;; [unrolled: 1-line block ×3, first 2 shown]
	global_load_dwordx4 v[40:43], v[20:21], off offset:1296
	s_waitcnt vmcnt(0)
	buffer_store_dword v40, off, s[40:43], 0 offset:1524 ; 4-byte Folded Spill
	s_nop 0
	buffer_store_dword v41, off, s[40:43], 0 offset:1528 ; 4-byte Folded Spill
	buffer_store_dword v42, off, s[40:43], 0 offset:1532 ; 4-byte Folded Spill
	;; [unrolled: 1-line block ×3, first 2 shown]
	v_mul_f64 v[16:17], v[16:17], v[54:55]
	v_fma_f64 v[124:125], v[18:19], v[52:53], v[16:17]
	ds_read_b128 v[16:19], v44 offset:34992
	s_waitcnt lgkmcnt(0)
	v_mul_f64 v[20:21], v[18:19], v[42:43]
	v_fma_f64 v[126:127], v[16:17], v[40:41], -v[20:21]
	v_mul_f64 v[16:17], v[16:17], v[42:43]
	v_fma_f64 v[128:129], v[18:19], v[40:41], v[16:17]
	v_mul_u32_u24_sdwa v16, v36, s2 dst_sel:DWORD dst_unused:UNUSED_PAD src0_sel:WORD_0 src1_sel:DWORD
	v_lshrrev_b32_e32 v16, 20, v16
	v_mul_lo_u16_e32 v17, 0x5a, v16
	v_sub_u16_e32 v17, v36, v17
	v_lshlrev_b16_e32 v18, 5, v17
	v_add_co_u32_e64 v40, s[0:1], s14, v18
	v_addc_co_u32_e64 v41, s[0:1], 0, v39, s[0:1]
	global_load_dwordx4 v[52:55], v[40:41], off offset:1280
	s_waitcnt vmcnt(0)
	buffer_store_dword v52, off, s[40:43], 0 offset:1576 ; 4-byte Folded Spill
	s_nop 0
	buffer_store_dword v53, off, s[40:43], 0 offset:1580 ; 4-byte Folded Spill
	buffer_store_dword v54, off, s[40:43], 0 offset:1584 ; 4-byte Folded Spill
	;; [unrolled: 1-line block ×3, first 2 shown]
	ds_read_b128 v[18:21], v44 offset:23328
	s_waitcnt lgkmcnt(0)
	v_mul_f64 v[42:43], v[20:21], v[54:55]
	v_fma_f64 v[138:139], v[18:19], v[52:53], -v[42:43]
	v_mul_f64 v[18:19], v[18:19], v[54:55]
	v_fma_f64 v[140:141], v[20:21], v[52:53], v[18:19]
	global_load_dwordx4 v[52:55], v[40:41], off offset:1296
	s_waitcnt vmcnt(0)
	buffer_store_dword v52, off, s[40:43], 0 offset:1596 ; 4-byte Folded Spill
	s_nop 0
	buffer_store_dword v53, off, s[40:43], 0 offset:1600 ; 4-byte Folded Spill
	buffer_store_dword v54, off, s[40:43], 0 offset:1604 ; 4-byte Folded Spill
	;; [unrolled: 1-line block ×3, first 2 shown]
	ds_read_b128 v[18:21], v44 offset:36288
	s_waitcnt lgkmcnt(0)
	v_mul_f64 v[40:41], v[20:21], v[54:55]
	v_fma_f64 v[142:143], v[18:19], v[52:53], -v[40:41]
	v_mul_f64 v[18:19], v[18:19], v[54:55]
	v_fma_f64 v[144:145], v[20:21], v[52:53], v[18:19]
	v_mul_u32_u24_sdwa v18, v35, s2 dst_sel:DWORD dst_unused:UNUSED_PAD src0_sel:WORD_0 src1_sel:DWORD
	v_lshrrev_b32_e32 v18, 20, v18
	v_mul_lo_u16_e32 v18, 0x5a, v18
	v_sub_u16_e32 v18, v35, v18
	v_lshlrev_b16_e32 v19, 5, v18
	v_add_co_u32_e64 v40, s[0:1], s14, v19
	v_addc_co_u32_e64 v41, s[0:1], 0, v39, s[0:1]
	global_load_dwordx4 v[52:55], v[40:41], off offset:1280
	s_waitcnt vmcnt(0)
	buffer_store_dword v52, off, s[40:43], 0 offset:1648 ; 4-byte Folded Spill
	s_nop 0
	buffer_store_dword v53, off, s[40:43], 0 offset:1652 ; 4-byte Folded Spill
	buffer_store_dword v54, off, s[40:43], 0 offset:1656 ; 4-byte Folded Spill
	;; [unrolled: 1-line block ×3, first 2 shown]
	ds_read_b128 v[19:22], v44 offset:24624
	v_cmp_lt_u16_e64 s[0:1], 8, v255
	s_movk_i32 s2, 0x1040
	s_waitcnt lgkmcnt(0)
	v_mul_f64 v[42:43], v[21:22], v[54:55]
	v_fma_f64 v[150:151], v[19:20], v[52:53], -v[42:43]
	v_mul_f64 v[19:20], v[19:20], v[54:55]
	v_add_f64 v[42:43], v[25:26], v[29:30]
	v_fma_f64 v[152:153], v[21:22], v[52:53], v[19:20]
	global_load_dwordx4 v[52:55], v[40:41], off offset:1296
	s_waitcnt vmcnt(0)
	buffer_store_dword v52, off, s[40:43], 0 offset:1664 ; 4-byte Folded Spill
	s_nop 0
	buffer_store_dword v53, off, s[40:43], 0 offset:1668 ; 4-byte Folded Spill
	buffer_store_dword v54, off, s[40:43], 0 offset:1672 ; 4-byte Folded Spill
	;; [unrolled: 1-line block ×3, first 2 shown]
	ds_read_b128 v[19:22], v44 offset:37584
	ds_read_b128 v[56:59], v44 offset:2592
	;; [unrolled: 1-line block ×9, first 2 shown]
	s_waitcnt lgkmcnt(8)
	v_mul_f64 v[40:41], v[21:22], v[54:55]
	v_fma_f64 v[154:155], v[19:20], v[52:53], -v[40:41]
	v_mul_f64 v[19:20], v[19:20], v[54:55]
	v_add_f64 v[40:41], v[23:24], v[27:28]
	v_add_f64 v[54:55], v[45:46], v[50:51]
	v_fma_f64 v[156:157], v[21:22], v[52:53], v[19:20]
	ds_read_b128 v[19:22], v44
	v_add_f64 v[52:53], v[31:32], v[48:49]
	s_waitcnt lgkmcnt(0)
	v_fma_f64 v[42:43], v[42:43], -0.5, v[21:22]
	v_add_f64 v[21:22], v[21:22], v[25:26]
	v_fma_f64 v[40:41], v[40:41], -0.5, v[19:20]
	v_add_f64 v[19:20], v[19:20], v[23:24]
	v_add_f64 v[25:26], v[25:26], -v[29:30]
	v_add_f64 v[21:22], v[21:22], v[29:30]
	v_add_f64 v[29:30], v[23:24], -v[27:28]
	v_add_f64 v[19:20], v[19:20], v[27:28]
	v_fma_f64 v[23:24], v[25:26], s[12:13], v[40:41]
	v_fma_f64 v[27:28], v[25:26], s[6:7], v[40:41]
	;; [unrolled: 1-line block ×4, first 2 shown]
	ds_read_b128 v[40:43], v44 offset:1296
	s_waitcnt vmcnt(0) lgkmcnt(0)
	s_barrier
	ds_write_b128 v44, v[19:22]
	ds_write_b128 v44, v[23:26] offset:1440
	ds_write_b128 v44, v[27:30] offset:2880
	v_fma_f64 v[52:53], v[52:53], -0.5, v[40:41]
	v_fma_f64 v[54:55], v[54:55], -0.5, v[42:43]
	v_add_f64 v[42:43], v[42:43], v[45:46]
	v_add_f64 v[40:41], v[40:41], v[31:32]
	v_add_f64 v[45:46], v[45:46], -v[50:51]
	v_add_f64 v[31:32], v[31:32], -v[48:49]
	v_mov_b32_e32 v19, 0x10e
	v_cndmask_b32_e64 v19, 0, v19, s[0:1]
	v_add_lshl_u32 v0, v0, v19, 4
	buffer_store_dword v0, off, s[40:43], 0 offset:1688 ; 4-byte Folded Spill
	v_add_f64 v[42:43], v[42:43], v[50:51]
	v_add_f64 v[40:41], v[40:41], v[48:49]
	v_fma_f64 v[48:49], v[45:46], s[12:13], v[52:53]
	v_fma_f64 v[52:53], v[45:46], s[6:7], v[52:53]
	v_add_f64 v[45:46], v[62:63], v[66:67]
	v_fma_f64 v[50:51], v[31:32], s[6:7], v[54:55]
	v_fma_f64 v[54:55], v[31:32], s[12:13], v[54:55]
	v_add_f64 v[31:32], v[60:61], v[64:65]
	ds_write_b128 v0, v[40:43]
	ds_write_b128 v0, v[48:51] offset:1440
	ds_write_b128 v0, v[52:55] offset:2880
	v_fma_f64 v[45:46], v[45:46], -0.5, v[58:59]
	v_add_f64 v[58:59], v[58:59], v[62:63]
	v_fma_f64 v[31:32], v[31:32], -0.5, v[56:57]
	v_add_f64 v[56:57], v[56:57], v[60:61]
	v_add_f64 v[62:63], v[62:63], -v[66:67]
	v_mul_u32_u24_e32 v0, 0x10e, v1
	v_add_lshl_u32 v0, v0, v5, 4
	s_movk_i32 s0, 0x10e
	buffer_store_dword v0, off, s[40:43], 0 offset:1684 ; 4-byte Folded Spill
	v_add_f64 v[58:59], v[58:59], v[66:67]
	v_add_f64 v[66:67], v[60:61], -v[64:65]
	v_add_f64 v[56:57], v[56:57], v[64:65]
	v_fma_f64 v[60:61], v[62:63], s[12:13], v[31:32]
	v_fma_f64 v[64:65], v[62:63], s[6:7], v[31:32]
	v_add_f64 v[31:32], v[72:73], v[76:77]
	v_fma_f64 v[62:63], v[66:67], s[6:7], v[45:46]
	v_fma_f64 v[66:67], v[66:67], s[12:13], v[45:46]
	v_add_f64 v[45:46], v[74:75], v[78:79]
	ds_write_b128 v0, v[56:59]
	ds_write_b128 v0, v[60:63] offset:1440
	ds_write_b128 v0, v[64:67] offset:2880
	v_fma_f64 v[31:32], v[31:32], -0.5, v[68:69]
	v_add_f64 v[68:69], v[68:69], v[72:73]
	v_fma_f64 v[45:46], v[45:46], -0.5, v[70:71]
	v_add_f64 v[70:71], v[70:71], v[74:75]
	v_add_f64 v[74:75], v[74:75], -v[78:79]
	v_mad_legacy_u16 v0, v6, s0, v7
	v_lshlrev_b32_e32 v0, 4, v0
	buffer_store_dword v0, off, s[40:43], 0 offset:1680 ; 4-byte Folded Spill
	v_add_f64 v[68:69], v[68:69], v[76:77]
	v_add_f64 v[70:71], v[70:71], v[78:79]
	v_add_f64 v[78:79], v[72:73], -v[76:77]
	v_fma_f64 v[72:73], v[74:75], s[12:13], v[31:32]
	v_fma_f64 v[76:77], v[74:75], s[6:7], v[31:32]
	v_add_f64 v[31:32], v[84:85], v[90:91]
	v_fma_f64 v[74:75], v[78:79], s[6:7], v[45:46]
	v_fma_f64 v[78:79], v[78:79], s[12:13], v[45:46]
	v_add_f64 v[45:46], v[86:87], v[92:93]
	v_fma_f64 v[31:32], v[31:32], -0.5, v[80:81]
	v_add_f64 v[80:81], v[80:81], v[84:85]
	ds_write_b128 v0, v[68:71]
	ds_write_b128 v0, v[72:75] offset:1440
	ds_write_b128 v0, v[76:79] offset:2880
	v_mad_legacy_u16 v0, v8, s0, v9
	v_lshlrev_b32_e32 v0, 4, v0
	v_fma_f64 v[45:46], v[45:46], -0.5, v[82:83]
	v_add_f64 v[82:83], v[82:83], v[86:87]
	v_add_f64 v[86:87], v[86:87], -v[92:93]
	v_add_f64 v[80:81], v[80:81], v[90:91]
	buffer_store_dword v0, off, s[40:43], 0 offset:1644 ; 4-byte Folded Spill
	v_add_f64 v[82:83], v[82:83], v[92:93]
	v_add_f64 v[92:93], v[84:85], -v[90:91]
	v_fma_f64 v[84:85], v[86:87], s[12:13], v[31:32]
	v_fma_f64 v[90:91], v[86:87], s[6:7], v[31:32]
	v_add_f64 v[31:32], v[98:99], v[102:103]
	v_fma_f64 v[86:87], v[92:93], s[6:7], v[45:46]
	v_fma_f64 v[92:93], v[92:93], s[12:13], v[45:46]
	v_add_f64 v[45:46], v[100:101], v[104:105]
	v_fma_f64 v[31:32], v[31:32], -0.5, v[94:95]
	v_add_f64 v[94:95], v[94:95], v[98:99]
	ds_write_b128 v0, v[80:83]
	ds_write_b128 v0, v[84:87] offset:1440
	ds_write_b128 v0, v[90:93] offset:2880
	v_mad_legacy_u16 v0, v10, s0, v11
	v_lshlrev_b32_e32 v0, 4, v0
	v_fma_f64 v[45:46], v[45:46], -0.5, v[96:97]
	v_add_f64 v[96:97], v[96:97], v[100:101]
	v_add_f64 v[100:101], v[100:101], -v[104:105]
	v_add_f64 v[94:95], v[94:95], v[102:103]
	buffer_store_dword v0, off, s[40:43], 0 offset:1592 ; 4-byte Folded Spill
	;; [unrolled: 20-line block ×3, first 2 shown]
	v_add_f64 v[108:109], v[108:109], v[116:117]
	v_add_f64 v[116:117], v[110:111], -v[114:115]
	v_fma_f64 v[110:111], v[112:113], s[12:13], v[31:32]
	v_fma_f64 v[114:115], v[112:113], s[6:7], v[31:32]
	v_add_f64 v[31:32], v[122:123], v[126:127]
	v_fma_f64 v[112:113], v[116:117], s[6:7], v[45:46]
	v_fma_f64 v[116:117], v[116:117], s[12:13], v[45:46]
	v_add_f64 v[45:46], v[124:125], v[128:129]
	v_fma_f64 v[31:32], v[31:32], -0.5, v[118:119]
	v_add_f64 v[118:119], v[118:119], v[122:123]
	v_add_f64 v[122:123], v[122:123], -v[126:127]
	ds_write_b128 v0, v[106:109]
	ds_write_b128 v0, v[110:113] offset:1440
	ds_write_b128 v0, v[114:117] offset:2880
	v_mad_legacy_u16 v0, v14, s0, v15
	v_lshlrev_b32_e32 v0, 4, v0
	v_fma_f64 v[45:46], v[45:46], -0.5, v[120:121]
	v_add_f64 v[120:121], v[120:121], v[124:125]
	v_add_f64 v[124:125], v[124:125], -v[128:129]
	v_add_f64 v[118:119], v[118:119], v[126:127]
	buffer_store_dword v0, off, s[40:43], 0 offset:1500 ; 4-byte Folded Spill
	v_fma_f64 v[132:133], v[122:123], s[12:13], v[45:46]
	v_add_f64 v[120:121], v[120:121], v[128:129]
	v_fma_f64 v[126:127], v[124:125], s[12:13], v[31:32]
	v_fma_f64 v[130:131], v[124:125], s[6:7], v[31:32]
	;; [unrolled: 1-line block ×3, first 2 shown]
	v_add_f64 v[31:32], v[138:139], v[142:143]
	v_add_f64 v[45:46], v[140:141], v[144:145]
	;; [unrolled: 1-line block ×4, first 2 shown]
	v_add_f64 v[140:141], v[140:141], -v[144:145]
	ds_write_b128 v0, v[118:121]
	ds_write_b128 v0, v[126:129] offset:1440
	ds_write_b128 v0, v[130:133] offset:2880
	v_mad_legacy_u16 v0, v16, s0, v17
	v_fma_f64 v[31:32], v[31:32], -0.5, v[134:135]
	v_fma_f64 v[45:46], v[45:46], -0.5, v[136:137]
	v_add_f64 v[136:137], v[122:123], v[144:145]
	v_add_f64 v[122:123], v[138:139], -v[142:143]
	v_add_f64 v[134:135], v[124:125], v[142:143]
	v_add_f64 v[124:125], v[146:147], v[150:151]
	v_add_co_u32_e64 v40, s[0:1], s14, v4
	v_fma_f64 v[138:139], v[140:141], s[12:13], v[31:32]
	v_fma_f64 v[142:143], v[140:141], s[6:7], v[31:32]
	v_add_f64 v[31:32], v[150:151], v[154:155]
	v_fma_f64 v[140:141], v[122:123], s[6:7], v[45:46]
	v_fma_f64 v[144:145], v[122:123], s[12:13], v[45:46]
	v_add_f64 v[45:46], v[152:153], v[156:157]
	v_add_f64 v[122:123], v[148:149], v[152:153]
	v_add_f64 v[152:153], v[152:153], -v[156:157]
	v_addc_co_u32_e64 v41, s[0:1], 0, v39, s[0:1]
	v_fma_f64 v[31:32], v[31:32], -0.5, v[146:147]
	v_add_f64 v[146:147], v[124:125], v[154:155]
	v_lshlrev_b32_e32 v0, 4, v0
	v_fma_f64 v[45:46], v[45:46], -0.5, v[148:149]
	v_add_f64 v[148:149], v[122:123], v[156:157]
	v_add_f64 v[122:123], v[150:151], -v[154:155]
	buffer_store_dword v0, off, s[40:43], 0 offset:1396 ; 4-byte Folded Spill
	ds_write_b128 v0, v[134:137]
	ds_write_b128 v0, v[138:141] offset:1440
	ds_write_b128 v0, v[142:145] offset:2880
	v_fma_f64 v[150:151], v[152:153], s[12:13], v[31:32]
	v_fma_f64 v[154:155], v[152:153], s[6:7], v[31:32]
	v_lshlrev_b32_e32 v0, 4, v18
	buffer_store_dword v0, off, s[40:43], 0 offset:1356 ; 4-byte Folded Spill
	v_fma_f64 v[152:153], v[122:123], s[6:7], v[45:46]
	v_fma_f64 v[156:157], v[122:123], s[12:13], v[45:46]
	v_add_co_u32_e64 v45, s[0:1], s35, v40
	v_addc_co_u32_e64 v46, s[0:1], 0, v41, s[0:1]
	ds_write_b128 v0, v[146:149] offset:34560
	ds_write_b128 v0, v[150:153] offset:36000
	;; [unrolled: 1-line block ×3, first 2 shown]
	s_waitcnt vmcnt(0) lgkmcnt(0)
	s_barrier
	global_load_dwordx4 v[8:11], v[45:46], off offset:64
	s_waitcnt vmcnt(0)
	buffer_store_dword v8, off, s[40:43], 0 offset:1400 ; 4-byte Folded Spill
	s_nop 0
	buffer_store_dword v9, off, s[40:43], 0 offset:1404 ; 4-byte Folded Spill
	buffer_store_dword v10, off, s[40:43], 0 offset:1408 ; 4-byte Folded Spill
	buffer_store_dword v11, off, s[40:43], 0 offset:1412 ; 4-byte Folded Spill
	ds_read_b128 v[4:7], v44 offset:12960
	s_waitcnt lgkmcnt(0)
	v_mul_f64 v[0:1], v[6:7], v[10:11]
	v_fma_f64 v[19:20], v[4:5], v[8:9], -v[0:1]
	v_mul_f64 v[0:1], v[4:5], v[10:11]
	v_fma_f64 v[25:26], v[6:7], v[8:9], v[0:1]
	v_add_co_u32_e64 v0, s[0:1], s2, v40
	v_addc_co_u32_e64 v1, s[0:1], 0, v41, s[0:1]
	global_load_dwordx4 v[8:11], v[0:1], off offset:16
	s_waitcnt vmcnt(0)
	buffer_store_dword v8, off, s[40:43], 0 offset:1416 ; 4-byte Folded Spill
	s_nop 0
	buffer_store_dword v9, off, s[40:43], 0 offset:1420 ; 4-byte Folded Spill
	buffer_store_dword v10, off, s[40:43], 0 offset:1424 ; 4-byte Folded Spill
	;; [unrolled: 1-line block ×3, first 2 shown]
	ds_read_b128 v[4:7], v44 offset:25920
	s_waitcnt lgkmcnt(0)
	v_mul_f64 v[0:1], v[6:7], v[10:11]
	v_fma_f64 v[29:30], v[4:5], v[8:9], -v[0:1]
	v_mul_f64 v[0:1], v[4:5], v[10:11]
	v_fma_f64 v[31:32], v[6:7], v[8:9], v[0:1]
	v_lshlrev_b32_e32 v0, 5, v3
	v_add_co_u32_e64 v42, s[0:1], s14, v0
	v_addc_co_u32_e64 v43, s[0:1], 0, v39, s[0:1]
	v_add_co_u32_e64 v0, s[0:1], s35, v42
	v_addc_co_u32_e64 v1, s[0:1], 0, v43, s[0:1]
	global_load_dwordx4 v[9:12], v[0:1], off offset:64
	s_waitcnt vmcnt(0)
	buffer_store_dword v9, off, s[40:43], 0 offset:1468 ; 4-byte Folded Spill
	s_nop 0
	buffer_store_dword v10, off, s[40:43], 0 offset:1472 ; 4-byte Folded Spill
	buffer_store_dword v11, off, s[40:43], 0 offset:1476 ; 4-byte Folded Spill
	;; [unrolled: 1-line block ×3, first 2 shown]
	ds_read_b128 v[5:8], v44 offset:14256
	s_waitcnt lgkmcnt(0)
	v_mul_f64 v[0:1], v[7:8], v[11:12]
	v_fma_f64 v[3:4], v[5:6], v[9:10], -v[0:1]
	v_mul_f64 v[0:1], v[5:6], v[11:12]
	v_fma_f64 v[11:12], v[7:8], v[9:10], v[0:1]
	v_add_co_u32_e64 v0, s[0:1], s2, v42
	v_addc_co_u32_e64 v1, s[0:1], 0, v43, s[0:1]
	global_load_dwordx4 v[13:16], v[0:1], off offset:16
	s_waitcnt vmcnt(0)
	buffer_store_dword v13, off, s[40:43], 0 offset:1484 ; 4-byte Folded Spill
	s_nop 0
	buffer_store_dword v14, off, s[40:43], 0 offset:1488 ; 4-byte Folded Spill
	buffer_store_dword v15, off, s[40:43], 0 offset:1492 ; 4-byte Folded Spill
	buffer_store_dword v16, off, s[40:43], 0 offset:1496 ; 4-byte Folded Spill
	ds_read_b128 v[5:8], v44 offset:27216
	s_waitcnt lgkmcnt(0)
	v_mul_f64 v[0:1], v[7:8], v[15:16]
	v_fma_f64 v[9:10], v[5:6], v[13:14], -v[0:1]
	v_mul_f64 v[0:1], v[5:6], v[15:16]
	v_fma_f64 v[17:18], v[7:8], v[13:14], v[0:1]
	v_lshlrev_b32_e32 v0, 5, v2
	v_add_co_u32_e64 v48, s[0:1], s14, v0
	v_addc_co_u32_e64 v49, s[0:1], 0, v39, s[0:1]
	v_add_co_u32_e64 v0, s[0:1], s35, v48
	v_addc_co_u32_e64 v1, s[0:1], 0, v49, s[0:1]
	global_load_dwordx4 v[21:24], v[0:1], off offset:64
	s_waitcnt vmcnt(0)
	buffer_store_dword v21, off, s[40:43], 0 offset:1544 ; 4-byte Folded Spill
	s_nop 0
	buffer_store_dword v22, off, s[40:43], 0 offset:1548 ; 4-byte Folded Spill
	buffer_store_dword v23, off, s[40:43], 0 offset:1552 ; 4-byte Folded Spill
	;; [unrolled: 1-line block ×3, first 2 shown]
	ds_read_b128 v[5:8], v44 offset:15552
	s_waitcnt lgkmcnt(0)
	v_mul_f64 v[0:1], v[7:8], v[23:24]
	v_fma_f64 v[13:14], v[5:6], v[21:22], -v[0:1]
	v_mul_f64 v[0:1], v[5:6], v[23:24]
	v_fma_f64 v[23:24], v[7:8], v[21:22], v[0:1]
	v_add_co_u32_e64 v0, s[0:1], s2, v48
	v_addc_co_u32_e64 v1, s[0:1], 0, v49, s[0:1]
	global_load_dwordx4 v[50:53], v[0:1], off offset:16
	s_waitcnt vmcnt(0)
	buffer_store_dword v50, off, s[40:43], 0 offset:1560 ; 4-byte Folded Spill
	s_nop 0
	buffer_store_dword v51, off, s[40:43], 0 offset:1564 ; 4-byte Folded Spill
	buffer_store_dword v52, off, s[40:43], 0 offset:1568 ; 4-byte Folded Spill
	;; [unrolled: 1-line block ×3, first 2 shown]
	ds_read_b128 v[5:8], v44 offset:28512
	v_cmp_gt_u16_e64 s[0:1], 27, v255
	s_waitcnt lgkmcnt(0)
	v_mul_f64 v[0:1], v[7:8], v[52:53]
	v_fma_f64 v[21:22], v[5:6], v[50:51], -v[0:1]
	v_mul_f64 v[0:1], v[5:6], v[52:53]
	v_fma_f64 v[27:28], v[7:8], v[50:51], v[0:1]
	v_addc_co_u32_e64 v0, s[38:39], 0, 0, vcc
	v_add_co_u32_e32 v2, vcc, s3, v255
	v_addc_co_u32_e64 v1, s[38:39], 0, -1, vcc
	v_cndmask_b32_e64 v1, v1, v0, s[0:1]
	v_cndmask_b32_e64 v0, v2, v47, s[0:1]
	v_lshlrev_b64 v[1:2], 5, v[0:1]
	s_movk_i32 s0, 0x1700
	v_add_co_u32_e32 v15, vcc, s14, v1
	v_addc_co_u32_e32 v16, vcc, v39, v2, vcc
	v_add_co_u32_e32 v1, vcc, s35, v15
	v_addc_co_u32_e32 v2, vcc, 0, v16, vcc
	global_load_dwordx4 v[50:53], v[1:2], off offset:64
	s_waitcnt vmcnt(0)
	buffer_store_dword v50, off, s[40:43], 0 offset:1612 ; 4-byte Folded Spill
	s_nop 0
	buffer_store_dword v51, off, s[40:43], 0 offset:1616 ; 4-byte Folded Spill
	buffer_store_dword v52, off, s[40:43], 0 offset:1620 ; 4-byte Folded Spill
	;; [unrolled: 1-line block ×3, first 2 shown]
	ds_read_b128 v[5:8], v44 offset:16848
	s_waitcnt lgkmcnt(0)
	v_mul_f64 v[1:2], v[7:8], v[52:53]
	v_fma_f64 v[1:2], v[5:6], v[50:51], -v[1:2]
	v_mul_f64 v[5:6], v[5:6], v[52:53]
	v_fma_f64 v[7:8], v[7:8], v[50:51], v[5:6]
	v_add_co_u32_e32 v5, vcc, s2, v15
	v_addc_co_u32_e32 v6, vcc, 0, v16, vcc
	global_load_dwordx4 v[54:57], v[5:6], off offset:16
	s_waitcnt vmcnt(0)
	buffer_store_dword v54, off, s[40:43], 0 offset:1628 ; 4-byte Folded Spill
	s_nop 0
	buffer_store_dword v55, off, s[40:43], 0 offset:1632 ; 4-byte Folded Spill
	buffer_store_dword v56, off, s[40:43], 0 offset:1636 ; 4-byte Folded Spill
	;; [unrolled: 1-line block ×3, first 2 shown]
	ds_read_b128 v[50:53], v44 offset:29808
	s_waitcnt lgkmcnt(0)
	v_mul_f64 v[5:6], v[52:53], v[56:57]
	v_mul_f64 v[15:16], v[50:51], v[56:57]
	v_fma_f64 v[5:6], v[50:51], v[54:55], -v[5:6]
	v_fma_f64 v[15:16], v[52:53], v[54:55], v[15:16]
	global_load_dwordx4 v[54:57], v[45:46], off offset:1792
	ds_read_b128 v[50:53], v44 offset:18144
	s_waitcnt vmcnt(0)
	buffer_store_dword v54, off, s[40:43], 0 offset:1692 ; 4-byte Folded Spill
	s_nop 0
	buffer_store_dword v55, off, s[40:43], 0 offset:1696 ; 4-byte Folded Spill
	buffer_store_dword v56, off, s[40:43], 0 offset:1700 ; 4-byte Folded Spill
	;; [unrolled: 1-line block ×3, first 2 shown]
	s_waitcnt lgkmcnt(0)
	v_mul_f64 v[45:46], v[52:53], v[56:57]
	v_fma_f64 v[45:46], v[50:51], v[54:55], -v[45:46]
	v_mul_f64 v[50:51], v[50:51], v[56:57]
	v_fma_f64 v[79:80], v[52:53], v[54:55], v[50:51]
	v_add_co_u32_e32 v50, vcc, s0, v40
	v_addc_co_u32_e32 v51, vcc, 0, v41, vcc
	global_load_dwordx4 v[56:59], v[50:51], off offset:16
	s_waitcnt vmcnt(0)
	buffer_store_dword v56, off, s[40:43], 0 offset:1708 ; 4-byte Folded Spill
	s_nop 0
	buffer_store_dword v57, off, s[40:43], 0 offset:1712 ; 4-byte Folded Spill
	buffer_store_dword v58, off, s[40:43], 0 offset:1716 ; 4-byte Folded Spill
	buffer_store_dword v59, off, s[40:43], 0 offset:1720 ; 4-byte Folded Spill
	ds_read_b128 v[50:53], v44 offset:31104
	s_movk_i32 s0, 0x2120
	s_waitcnt lgkmcnt(0)
	v_mul_f64 v[54:55], v[52:53], v[58:59]
	v_fma_f64 v[81:82], v[50:51], v[56:57], -v[54:55]
	v_mul_f64 v[50:51], v[50:51], v[58:59]
	v_fma_f64 v[83:84], v[52:53], v[56:57], v[50:51]
	v_add_co_u32_e32 v50, vcc, s36, v40
	v_addc_co_u32_e32 v51, vcc, 0, v41, vcc
	global_load_dwordx4 v[56:59], v[50:51], off offset:288
	ds_read_b128 v[50:53], v44 offset:19440
	v_add_f64 v[85:86], v[79:80], -v[83:84]
	s_waitcnt vmcnt(0) lgkmcnt(0)
	v_mul_f64 v[54:55], v[52:53], v[58:59]
	v_fma_f64 v[94:95], v[50:51], v[56:57], -v[54:55]
	buffer_store_dword v56, off, s[40:43], 0 offset:1724 ; 4-byte Folded Spill
	s_nop 0
	buffer_store_dword v57, off, s[40:43], 0 offset:1728 ; 4-byte Folded Spill
	buffer_store_dword v58, off, s[40:43], 0 offset:1732 ; 4-byte Folded Spill
	;; [unrolled: 1-line block ×3, first 2 shown]
	ds_read_b128 v[63:66], v44 offset:1296
	ds_read_b128 v[75:78], v44 offset:3888
	;; [unrolled: 1-line block ×7, first 2 shown]
	v_mul_f64 v[50:51], v[50:51], v[58:59]
	v_fma_f64 v[96:97], v[52:53], v[56:57], v[50:51]
	v_add_co_u32_e32 v50, vcc, s0, v40
	v_addc_co_u32_e32 v51, vcc, 0, v41, vcc
	global_load_dwordx4 v[247:250], v[50:51], off offset:16
	ds_read_b128 v[50:53], v44 offset:32400
	s_movk_i32 s0, 0x795d
	s_waitcnt vmcnt(0) lgkmcnt(0)
	v_mul_f64 v[54:55], v[52:53], v[249:250]
	v_fma_f64 v[98:99], v[50:51], v[247:248], -v[54:55]
	v_mul_f64 v[50:51], v[50:51], v[249:250]
	v_fma_f64 v[100:101], v[52:53], v[247:248], v[50:51]
	v_mul_u32_u24_sdwa v50, v38, s0 dst_sel:DWORD dst_unused:UNUSED_PAD src0_sel:WORD_0 src1_sel:DWORD
	v_lshrrev_b32_e32 v50, 23, v50
	v_mul_lo_u16_e32 v51, 0x10e, v50
	v_sub_u16_e32 v51, v38, v51
	v_lshlrev_b16_e32 v52, 5, v51
	v_add_co_u32_e32 v58, vcc, s14, v52
	v_addc_co_u32_e32 v59, vcc, 0, v39, vcc
	v_add_co_u32_e32 v52, vcc, s35, v58
	v_addc_co_u32_e32 v53, vcc, 0, v59, vcc
	global_load_dwordx4 v[243:246], v[52:53], off offset:64
	ds_read_b128 v[52:55], v44 offset:20736
	s_waitcnt vmcnt(0) lgkmcnt(0)
	v_mul_f64 v[56:57], v[54:55], v[245:246]
	v_fma_f64 v[106:107], v[52:53], v[243:244], -v[56:57]
	v_mul_f64 v[52:53], v[52:53], v[245:246]
	v_fma_f64 v[108:109], v[54:55], v[243:244], v[52:53]
	v_add_co_u32_e32 v52, vcc, s2, v58
	v_addc_co_u32_e32 v53, vcc, 0, v59, vcc
	global_load_dwordx4 v[235:238], v[52:53], off offset:16
	ds_read_b128 v[52:55], v44 offset:33696
	s_waitcnt vmcnt(0) lgkmcnt(0)
	v_mul_f64 v[56:57], v[54:55], v[237:238]
	v_fma_f64 v[110:111], v[52:53], v[235:236], -v[56:57]
	v_mul_f64 v[52:53], v[52:53], v[237:238]
	v_fma_f64 v[112:113], v[54:55], v[235:236], v[52:53]
	v_mul_u32_u24_sdwa v52, v37, s0 dst_sel:DWORD dst_unused:UNUSED_PAD src0_sel:WORD_0 src1_sel:DWORD
	v_lshrrev_b32_e32 v52, 23, v52
	v_mul_lo_u16_e32 v52, 0x10e, v52
	v_sub_u16_e32 v52, v37, v52
	v_lshlrev_b16_e32 v53, 5, v52
	v_add_co_u32_e32 v59, vcc, s14, v53
	v_addc_co_u32_e32 v60, vcc, 0, v39, vcc
	v_add_co_u32_e32 v53, vcc, s35, v59
	v_addc_co_u32_e32 v54, vcc, 0, v60, vcc
	global_load_dwordx4 v[227:230], v[53:54], off offset:64
	ds_read_b128 v[53:56], v44 offset:22032
	s_waitcnt vmcnt(0) lgkmcnt(0)
	v_mul_f64 v[57:58], v[55:56], v[229:230]
	v_fma_f64 v[118:119], v[53:54], v[227:228], -v[57:58]
	v_mul_f64 v[53:54], v[53:54], v[229:230]
	v_fma_f64 v[120:121], v[55:56], v[227:228], v[53:54]
	v_add_co_u32_e32 v53, vcc, s2, v59
	v_addc_co_u32_e32 v54, vcc, 0, v60, vcc
	global_load_dwordx4 v[211:214], v[53:54], off offset:16
	ds_read_b128 v[53:56], v44 offset:34992
	;; [unrolled: 25-line block ×3, first 2 shown]
	s_waitcnt vmcnt(0) lgkmcnt(0)
	v_mul_f64 v[58:59], v[56:57], v[193:194]
	v_fma_f64 v[138:139], v[54:55], v[191:192], -v[58:59]
	v_mul_f64 v[54:55], v[54:55], v[193:194]
	v_fma_f64 v[140:141], v[56:57], v[191:192], v[54:55]
	v_mul_u32_u24_sdwa v54, v35, s0 dst_sel:DWORD dst_unused:UNUSED_PAD src0_sel:WORD_0 src1_sel:DWORD
	v_lshrrev_b32_e32 v54, 23, v54
	v_mul_lo_u16_e32 v54, 0x10e, v54
	v_sub_u16_e32 v54, v35, v54
	v_lshlrev_b16_e32 v55, 5, v54
	v_add_co_u32_e32 v61, vcc, s14, v55
	v_addc_co_u32_e32 v62, vcc, 0, v39, vcc
	v_add_co_u32_e32 v55, vcc, s35, v61
	v_addc_co_u32_e32 v56, vcc, 0, v62, vcc
	global_load_dwordx4 v[179:182], v[55:56], off offset:64
	ds_read_b128 v[55:58], v44 offset:24624
	s_movk_i32 s0, 0x3200
	s_waitcnt vmcnt(0) lgkmcnt(0)
	v_mul_f64 v[59:60], v[57:58], v[181:182]
	v_fma_f64 v[146:147], v[55:56], v[179:180], -v[59:60]
	v_mul_f64 v[55:56], v[55:56], v[181:182]
	v_fma_f64 v[148:149], v[57:58], v[179:180], v[55:56]
	v_add_co_u32_e32 v55, vcc, s2, v61
	v_addc_co_u32_e32 v56, vcc, 0, v62, vcc
	global_load_dwordx4 v[167:170], v[55:56], off offset:16
	ds_read_b128 v[55:58], v44 offset:37584
	v_add_f64 v[61:62], v[25:26], v[31:32]
	v_cmp_lt_u16_e32 vcc, 26, v255
	s_load_dwordx2 s[2:3], s[4:5], 0x38
	s_waitcnt vmcnt(0) lgkmcnt(0)
	v_mul_f64 v[59:60], v[57:58], v[169:170]
	v_fma_f64 v[150:151], v[55:56], v[167:168], -v[59:60]
	v_mul_f64 v[55:56], v[55:56], v[169:170]
	v_add_f64 v[59:60], v[19:20], v[29:30]
	v_fma_f64 v[152:153], v[57:58], v[167:168], v[55:56]
	ds_read_b128 v[55:58], v44
	s_waitcnt lgkmcnt(0)
	v_fma_f64 v[59:60], v[59:60], -0.5, v[55:56]
	v_fma_f64 v[61:62], v[61:62], -0.5, v[57:58]
	v_add_f64 v[57:58], v[57:58], v[25:26]
	v_add_f64 v[55:56], v[55:56], v[19:20]
	v_add_f64 v[19:20], v[19:20], -v[29:30]
	v_add_f64 v[25:26], v[25:26], -v[31:32]
	v_add_f64 v[57:58], v[57:58], v[31:32]
	v_add_f64 v[55:56], v[55:56], v[29:30]
	v_fma_f64 v[31:32], v[19:20], s[6:7], v[61:62]
	v_fma_f64 v[61:62], v[19:20], s[12:13], v[61:62]
	v_add_f64 v[19:20], v[3:4], v[9:10]
	v_fma_f64 v[29:30], v[25:26], s[12:13], v[59:60]
	v_fma_f64 v[59:60], v[25:26], s[6:7], v[59:60]
	v_fma_f64 v[25:26], v[19:20], -0.5, v[63:64]
	v_add_f64 v[19:20], v[11:12], v[17:18]
	v_add_f64 v[63:64], v[63:64], v[3:4]
	v_add_f64 v[3:4], v[3:4], -v[9:10]
	v_fma_f64 v[67:68], v[19:20], -0.5, v[65:66]
	v_add_f64 v[19:20], v[65:66], v[11:12]
	v_add_f64 v[11:12], v[11:12], -v[17:18]
	v_fma_f64 v[65:66], v[3:4], s[12:13], v[67:68]
	v_add_f64 v[19:20], v[19:20], v[17:18]
	v_add_f64 v[17:18], v[63:64], v[9:10]
	v_fma_f64 v[9:10], v[11:12], s[12:13], v[25:26]
	v_fma_f64 v[63:64], v[11:12], s[6:7], v[25:26]
	;; [unrolled: 1-line block ×3, first 2 shown]
	v_add_f64 v[3:4], v[13:14], v[21:22]
	v_add_f64 v[25:26], v[23:24], v[27:28]
	ds_read_b128 v[67:70], v44 offset:2592
	s_waitcnt lgkmcnt(0)
	v_fma_f64 v[3:4], v[3:4], -0.5, v[67:68]
	v_fma_f64 v[73:74], v[25:26], -0.5, v[69:70]
	v_add_f64 v[25:26], v[69:70], v[23:24]
	v_add_f64 v[67:68], v[67:68], v[13:14]
	v_add_f64 v[69:70], v[23:24], -v[27:28]
	v_add_f64 v[13:14], v[13:14], -v[21:22]
	v_add_f64 v[25:26], v[25:26], v[27:28]
	v_add_f64 v[23:24], v[67:68], v[21:22]
	v_fma_f64 v[67:68], v[69:70], s[12:13], v[3:4]
	v_fma_f64 v[71:72], v[69:70], s[6:7], v[3:4]
	;; [unrolled: 1-line block ×4, first 2 shown]
	v_add_f64 v[13:14], v[7:8], v[15:16]
	v_add_f64 v[3:4], v[1:2], v[5:6]
	;; [unrolled: 1-line block ×3, first 2 shown]
	v_fma_f64 v[21:22], v[13:14], -0.5, v[77:78]
	v_add_f64 v[13:14], v[77:78], v[7:8]
	v_fma_f64 v[3:4], v[3:4], -0.5, v[75:76]
	v_add_f64 v[7:8], v[7:8], -v[15:16]
	ds_read_b128 v[75:78], v44 offset:5184
	s_waitcnt lgkmcnt(0)
	s_barrier
	ds_write_b128 v44, v[55:58]
	ds_write_b128 v44, v[29:32] offset:4320
	ds_write_b128 v44, v[59:62] offset:8640
	;; [unrolled: 1-line block ×8, first 2 shown]
	v_add_f64 v[15:16], v[13:14], v[15:16]
	v_add_f64 v[13:14], v[27:28], v[5:6]
	v_add_f64 v[27:28], v[1:2], -v[5:6]
	v_fma_f64 v[1:2], v[7:8], s[12:13], v[3:4]
	v_fma_f64 v[5:6], v[7:8], s[6:7], v[3:4]
	v_mov_b32_e32 v9, 0x32a
	v_cndmask_b32_e32 v9, 0, v9, vcc
	v_add_lshl_u32 v0, v0, v9, 4
	buffer_store_dword v0, off, s[40:43], 0 offset:1756 ; 4-byte Folded Spill
	v_fma_f64 v[3:4], v[27:28], s[6:7], v[21:22]
	v_fma_f64 v[7:8], v[27:28], s[12:13], v[21:22]
	v_add_f64 v[21:22], v[45:46], v[81:82]
	v_add_f64 v[27:28], v[79:80], v[83:84]
	v_fma_f64 v[21:22], v[21:22], -0.5, v[75:76]
	v_fma_f64 v[27:28], v[27:28], -0.5, v[77:78]
	v_add_f64 v[77:78], v[77:78], v[79:80]
	v_add_f64 v[75:76], v[75:76], v[45:46]
	v_add_f64 v[45:46], v[45:46], -v[81:82]
	v_fma_f64 v[79:80], v[85:86], s[12:13], v[21:22]
	v_add_f64 v[77:78], v[77:78], v[83:84]
	v_add_f64 v[75:76], v[75:76], v[81:82]
	v_fma_f64 v[83:84], v[85:86], s[6:7], v[21:22]
	v_fma_f64 v[81:82], v[45:46], s[6:7], v[27:28]
	;; [unrolled: 1-line block ×3, first 2 shown]
	v_add_f64 v[21:22], v[94:95], v[98:99]
	v_add_f64 v[27:28], v[96:97], v[100:101]
	;; [unrolled: 1-line block ×3, first 2 shown]
	v_add_f64 v[96:97], v[96:97], -v[100:101]
	v_fma_f64 v[21:22], v[21:22], -0.5, v[90:91]
	v_fma_f64 v[27:28], v[27:28], -0.5, v[92:93]
	v_add_f64 v[90:91], v[90:91], v[94:95]
	v_add_f64 v[92:93], v[45:46], v[100:101]
	v_add_f64 v[45:46], v[94:95], -v[98:99]
	v_fma_f64 v[94:95], v[96:97], s[12:13], v[21:22]
	v_add_f64 v[90:91], v[90:91], v[98:99]
	v_fma_f64 v[98:99], v[96:97], s[6:7], v[21:22]
	v_fma_f64 v[96:97], v[45:46], s[6:7], v[27:28]
	;; [unrolled: 1-line block ×3, first 2 shown]
	v_add_f64 v[21:22], v[106:107], v[110:111]
	v_add_f64 v[27:28], v[108:109], v[112:113]
	;; [unrolled: 1-line block ×3, first 2 shown]
	v_add_f64 v[108:109], v[108:109], -v[112:113]
	ds_write_b128 v0, v[13:16]
	ds_write_b128 v0, v[1:4] offset:4320
	ds_write_b128 v0, v[5:8] offset:8640
	;; [unrolled: 1-line block ×8, first 2 shown]
	v_mad_legacy_u16 v0, v50, s34, v51
	v_lshlrev_b32_e32 v0, 4, v0
	buffer_store_dword v0, off, s[40:43], 0 offset:1752 ; 4-byte Folded Spill
	v_fma_f64 v[21:22], v[21:22], -0.5, v[102:103]
	v_fma_f64 v[27:28], v[27:28], -0.5, v[104:105]
	v_add_f64 v[102:103], v[102:103], v[106:107]
	v_add_f64 v[104:105], v[45:46], v[112:113]
	v_add_f64 v[45:46], v[106:107], -v[110:111]
	v_fma_f64 v[106:107], v[108:109], s[12:13], v[21:22]
	v_add_f64 v[102:103], v[102:103], v[110:111]
	v_fma_f64 v[110:111], v[108:109], s[6:7], v[21:22]
	v_fma_f64 v[108:109], v[45:46], s[6:7], v[27:28]
	;; [unrolled: 1-line block ×3, first 2 shown]
	v_add_f64 v[21:22], v[118:119], v[122:123]
	v_add_f64 v[27:28], v[120:121], v[124:125]
	;; [unrolled: 1-line block ×3, first 2 shown]
	v_add_f64 v[120:121], v[120:121], -v[124:125]
	ds_write_b128 v0, v[102:105]
	ds_write_b128 v0, v[106:109] offset:4320
	ds_write_b128 v0, v[110:113] offset:8640
	v_lshlrev_b32_e32 v0, 4, v52
	buffer_store_dword v0, off, s[40:43], 0 offset:1740 ; 4-byte Folded Spill
	v_fma_f64 v[21:22], v[21:22], -0.5, v[114:115]
	v_fma_f64 v[27:28], v[27:28], -0.5, v[116:117]
	v_add_f64 v[116:117], v[45:46], v[124:125]
	v_add_f64 v[45:46], v[118:119], -v[122:123]
	v_add_f64 v[114:115], v[114:115], v[118:119]
	v_add_f64 v[124:125], v[136:137], -v[140:141]
	v_fma_f64 v[118:119], v[120:121], s[12:13], v[21:22]
	v_fma_f64 v[126:127], v[120:121], s[6:7], v[21:22]
	v_add_f64 v[21:22], v[134:135], v[138:139]
	v_fma_f64 v[120:121], v[45:46], s[6:7], v[27:28]
	v_fma_f64 v[128:129], v[45:46], s[12:13], v[27:28]
	v_add_f64 v[27:28], v[136:137], v[140:141]
	v_add_f64 v[45:46], v[132:133], v[136:137]
	;; [unrolled: 1-line block ×4, first 2 shown]
	ds_write_b128 v0, v[114:117] offset:25920
	ds_write_b128 v0, v[118:121] offset:30240
	;; [unrolled: 1-line block ×3, first 2 shown]
	v_fma_f64 v[21:22], v[21:22], -0.5, v[130:131]
	v_fma_f64 v[27:28], v[27:28], -0.5, v[132:133]
	v_add_f64 v[132:133], v[45:46], v[140:141]
	v_add_f64 v[45:46], v[134:135], -v[138:139]
	v_add_f64 v[130:131], v[122:123], v[138:139]
	v_add_f64 v[122:123], v[142:143], v[146:147]
	v_lshlrev_b32_e32 v0, 4, v53
	buffer_store_dword v0, off, s[40:43], 0 offset:1744 ; 4-byte Folded Spill
	v_fma_f64 v[134:135], v[124:125], s[12:13], v[21:22]
	v_fma_f64 v[138:139], v[124:125], s[6:7], v[21:22]
	v_add_f64 v[21:22], v[146:147], v[150:151]
	v_fma_f64 v[136:137], v[45:46], s[6:7], v[27:28]
	v_fma_f64 v[140:141], v[45:46], s[12:13], v[27:28]
	v_add_f64 v[27:28], v[148:149], v[152:153]
	v_add_f64 v[45:46], v[144:145], v[148:149]
	v_add_f64 v[124:125], v[148:149], -v[152:153]
	ds_write_b128 v0, v[130:133] offset:25920
	ds_write_b128 v0, v[134:137] offset:30240
	;; [unrolled: 1-line block ×3, first 2 shown]
	v_fma_f64 v[21:22], v[21:22], -0.5, v[142:143]
	v_add_f64 v[142:143], v[122:123], v[150:151]
	v_fma_f64 v[27:28], v[27:28], -0.5, v[144:145]
	v_add_f64 v[144:145], v[45:46], v[152:153]
	v_add_f64 v[45:46], v[146:147], -v[150:151]
	v_lshlrev_b32_e32 v0, 4, v54
	buffer_store_dword v0, off, s[40:43], 0 offset:1748 ; 4-byte Folded Spill
	v_fma_f64 v[146:147], v[124:125], s[12:13], v[21:22]
	v_fma_f64 v[150:151], v[124:125], s[6:7], v[21:22]
	;; [unrolled: 1-line block ×4, first 2 shown]
	ds_write_b128 v0, v[142:145] offset:25920
	ds_write_b128 v0, v[146:149] offset:30240
	ds_write_b128 v0, v[150:153] offset:34560
	v_add_co_u32_e32 v0, vcc, s33, v40
	v_addc_co_u32_e32 v1, vcc, 0, v41, vcc
	s_waitcnt vmcnt(0) lgkmcnt(0)
	s_barrier
	global_load_dwordx4 v[239:242], v[0:1], off offset:512
	ds_read_b128 v[0:3], v44 offset:12960
	ds_read_b128 v[63:66], v44 offset:6480
	;; [unrolled: 1-line block ×6, first 2 shown]
	s_waitcnt vmcnt(0) lgkmcnt(5)
	v_mul_f64 v[4:5], v[2:3], v[241:242]
	v_fma_f64 v[4:5], v[0:1], v[239:240], -v[4:5]
	v_mul_f64 v[0:1], v[0:1], v[241:242]
	v_fma_f64 v[6:7], v[2:3], v[239:240], v[0:1]
	v_add_co_u32_e32 v0, vcc, s0, v40
	v_addc_co_u32_e32 v1, vcc, 0, v41, vcc
	global_load_dwordx4 v[231:234], v[0:1], off offset:16
	ds_read_b128 v[0:3], v44 offset:25920
	s_waitcnt vmcnt(0) lgkmcnt(0)
	v_mul_f64 v[8:9], v[2:3], v[233:234]
	v_fma_f64 v[12:13], v[0:1], v[231:232], -v[8:9]
	v_mul_f64 v[0:1], v[0:1], v[233:234]
	v_fma_f64 v[8:9], v[2:3], v[231:232], v[0:1]
	v_add_co_u32_e32 v0, vcc, s33, v42
	v_addc_co_u32_e32 v1, vcc, 0, v43, vcc
	global_load_dwordx4 v[223:226], v[0:1], off offset:512
	ds_read_b128 v[0:3], v44 offset:14256
	;; [unrolled: 9-line block ×5, first 2 shown]
	s_waitcnt vmcnt(0) lgkmcnt(0)
	v_mul_f64 v[10:11], v[2:3], v[209:210]
	v_fma_f64 v[40:41], v[0:1], v[207:208], -v[10:11]
	v_mul_f64 v[0:1], v[0:1], v[209:210]
	v_fma_f64 v[42:43], v[2:3], v[207:208], v[0:1]
	v_lshlrev_b32_e32 v0, 5, v47
	v_add_co_u32_e32 v14, vcc, s14, v0
	v_addc_co_u32_e32 v15, vcc, 0, v39, vcc
	v_add_co_u32_e32 v0, vcc, s33, v14
	v_addc_co_u32_e32 v1, vcc, 0, v15, vcc
	global_load_dwordx4 v[199:202], v[0:1], off offset:512
	ds_read_b128 v[0:3], v44 offset:16848
	s_waitcnt vmcnt(0) lgkmcnt(0)
	v_mul_f64 v[10:11], v[2:3], v[201:202]
	v_fma_f64 v[45:46], v[0:1], v[199:200], -v[10:11]
	v_mul_f64 v[0:1], v[0:1], v[201:202]
	v_fma_f64 v[47:48], v[2:3], v[199:200], v[0:1]
	v_add_co_u32_e32 v0, vcc, s0, v14
	v_addc_co_u32_e32 v1, vcc, 0, v15, vcc
	global_load_dwordx4 v[195:198], v[0:1], off offset:16
	ds_read_b128 v[0:3], v44 offset:29808
	s_waitcnt vmcnt(0) lgkmcnt(0)
	v_mul_f64 v[10:11], v[2:3], v[197:198]
	v_fma_f64 v[49:50], v[0:1], v[195:196], -v[10:11]
	v_mul_f64 v[0:1], v[0:1], v[197:198]
	v_fma_f64 v[51:52], v[2:3], v[195:196], v[0:1]
	v_lshlrev_b32_e32 v0, 5, v34
	v_add_co_u32_e32 v14, vcc, s14, v0
	v_addc_co_u32_e32 v15, vcc, 0, v39, vcc
	v_add_co_u32_e32 v0, vcc, s33, v14
	v_addc_co_u32_e32 v1, vcc, 0, v15, vcc
	global_load_dwordx4 v[187:190], v[0:1], off offset:512
	ds_read_b128 v[0:3], v44 offset:18144
	s_waitcnt vmcnt(0) lgkmcnt(0)
	v_mul_f64 v[10:11], v[2:3], v[189:190]
	v_fma_f64 v[55:56], v[0:1], v[187:188], -v[10:11]
	v_mul_f64 v[0:1], v[0:1], v[189:190]
	v_fma_f64 v[57:58], v[2:3], v[187:188], v[0:1]
	v_add_co_u32_e32 v0, vcc, s0, v14
	v_addc_co_u32_e32 v1, vcc, 0, v15, vcc
	global_load_dwordx4 v[183:186], v[0:1], off offset:16
	ds_read_b128 v[0:3], v44 offset:31104
	;; [unrolled: 21-line block ×6, first 2 shown]
	s_waitcnt vmcnt(0) lgkmcnt(0)
	v_mul_f64 v[10:11], v[2:3], v[136:137]
	v_fma_f64 v[110:111], v[0:1], v[134:135], -v[10:11]
	v_mul_f64 v[0:1], v[0:1], v[136:137]
	v_fma_f64 v[112:113], v[2:3], v[134:135], v[0:1]
	v_lshlrev_b32_e32 v0, 5, v35
	v_add_co_u32_e32 v14, vcc, s14, v0
	v_addc_co_u32_e32 v15, vcc, 0, v39, vcc
	v_add_co_u32_e32 v0, vcc, s33, v14
	v_addc_co_u32_e32 v1, vcc, 0, v15, vcc
	global_load_dwordx4 v[138:141], v[0:1], off offset:512
	ds_read_b128 v[0:3], v44 offset:24624
	v_add_f64 v[34:35], v[28:29], -v[40:41]
	ds_read_b128 v[36:39], v44 offset:3888
	s_waitcnt vmcnt(0) lgkmcnt(1)
	v_mul_f64 v[10:11], v[2:3], v[140:141]
	v_fma_f64 v[118:119], v[0:1], v[138:139], -v[10:11]
	v_mul_f64 v[0:1], v[0:1], v[140:141]
	v_fma_f64 v[120:121], v[2:3], v[138:139], v[0:1]
	v_add_co_u32_e32 v0, vcc, s0, v14
	v_addc_co_u32_e32 v1, vcc, 0, v15, vcc
	global_load_dwordx4 v[142:145], v[0:1], off offset:16
	ds_read_b128 v[0:3], v44 offset:37584
	s_mov_b32 s0, 0x97e0
	s_waitcnt vmcnt(0) lgkmcnt(0)
	v_mul_f64 v[10:11], v[2:3], v[144:145]
	v_fma_f64 v[126:127], v[0:1], v[142:143], -v[10:11]
	v_mul_f64 v[0:1], v[0:1], v[144:145]
	v_add_f64 v[10:11], v[4:5], v[12:13]
	v_fma_f64 v[128:129], v[2:3], v[142:143], v[0:1]
	ds_read_b128 v[0:3], v44
	s_waitcnt lgkmcnt(0)
	v_fma_f64 v[14:15], v[10:11], -0.5, v[0:1]
	v_add_f64 v[10:11], v[6:7], v[8:9]
	v_add_f64 v[0:1], v[0:1], v[4:5]
	v_fma_f64 v[24:25], v[10:11], -0.5, v[2:3]
	v_add_f64 v[2:3], v[2:3], v[6:7]
	v_add_f64 v[6:7], v[6:7], -v[8:9]
	v_add_f64 v[10:11], v[2:3], v[8:9]
	v_add_f64 v[8:9], v[0:1], v[12:13]
	v_add_f64 v[0:1], v[4:5], -v[12:13]
	v_add_f64 v[2:3], v[18:19], v[22:23]
	v_fma_f64 v[4:5], v[6:7], s[12:13], v[14:15]
	v_fma_f64 v[122:123], v[6:7], s[6:7], v[14:15]
	ds_read_b128 v[12:15], v44 offset:1296
	v_fma_f64 v[6:7], v[0:1], s[6:7], v[24:25]
	v_fma_f64 v[124:125], v[0:1], s[12:13], v[24:25]
	v_add_f64 v[0:1], v[16:17], v[20:21]
	s_waitcnt lgkmcnt(0)
	v_fma_f64 v[2:3], v[2:3], -0.5, v[14:15]
	v_add_f64 v[14:15], v[14:15], v[18:19]
	v_add_f64 v[18:19], v[18:19], -v[22:23]
	ds_read_b128 v[24:27], v44 offset:2592
	v_fma_f64 v[0:1], v[0:1], -0.5, v[12:13]
	v_add_f64 v[12:13], v[12:13], v[16:17]
	v_add_f64 v[14:15], v[14:15], v[22:23]
	v_add_f64 v[22:23], v[16:17], -v[20:21]
	v_fma_f64 v[16:17], v[18:19], s[12:13], v[0:1]
	v_add_f64 v[12:13], v[12:13], v[20:21]
	v_fma_f64 v[20:21], v[18:19], s[6:7], v[0:1]
	v_fma_f64 v[18:19], v[22:23], s[6:7], v[2:3]
	;; [unrolled: 1-line block ×3, first 2 shown]
	v_add_f64 v[0:1], v[28:29], v[40:41]
	v_add_f64 v[2:3], v[30:31], v[42:43]
	s_waitcnt lgkmcnt(0)
	v_fma_f64 v[0:1], v[0:1], -0.5, v[24:25]
	v_fma_f64 v[2:3], v[2:3], -0.5, v[26:27]
	v_add_f64 v[26:27], v[26:27], v[30:31]
	v_add_f64 v[30:31], v[30:31], -v[42:43]
	v_add_f64 v[24:25], v[24:25], v[28:29]
	v_add_f64 v[26:27], v[26:27], v[42:43]
	v_fma_f64 v[28:29], v[30:31], s[12:13], v[0:1]
	v_fma_f64 v[32:33], v[30:31], s[6:7], v[0:1]
	v_fma_f64 v[30:31], v[34:35], s[6:7], v[2:3]
	v_fma_f64 v[34:35], v[34:35], s[12:13], v[2:3]
	v_add_f64 v[2:3], v[47:48], v[51:52]
	v_add_f64 v[0:1], v[45:46], v[49:50]
	v_add_f64 v[42:43], v[47:48], -v[51:52]
	v_add_f64 v[24:25], v[24:25], v[40:41]
	v_fma_f64 v[2:3], v[2:3], -0.5, v[38:39]
	v_add_f64 v[38:39], v[38:39], v[47:48]
	v_fma_f64 v[0:1], v[0:1], -0.5, v[36:37]
	v_add_f64 v[36:37], v[36:37], v[45:46]
	v_add_f64 v[45:46], v[45:46], -v[49:50]
	v_add_f64 v[38:39], v[38:39], v[51:52]
	ds_read_b128 v[51:54], v44 offset:5184
	v_add_f64 v[36:37], v[36:37], v[49:50]
	v_fma_f64 v[40:41], v[42:43], s[12:13], v[0:1]
	v_fma_f64 v[47:48], v[42:43], s[6:7], v[0:1]
	v_fma_f64 v[42:43], v[45:46], s[6:7], v[2:3]
	v_fma_f64 v[49:50], v[45:46], s[12:13], v[2:3]
	v_add_f64 v[0:1], v[55:56], v[59:60]
	v_add_f64 v[2:3], v[57:58], v[61:62]
	s_waitcnt lgkmcnt(0)
	v_add_f64 v[45:46], v[53:54], v[57:58]
	v_add_f64 v[57:58], v[57:58], -v[61:62]
	v_fma_f64 v[0:1], v[0:1], -0.5, v[51:52]
	v_fma_f64 v[2:3], v[2:3], -0.5, v[53:54]
	v_add_f64 v[51:52], v[51:52], v[55:56]
	v_add_f64 v[53:54], v[45:46], v[61:62]
	v_add_f64 v[45:46], v[55:56], -v[59:60]
	v_fma_f64 v[55:56], v[57:58], s[12:13], v[0:1]
	v_add_f64 v[51:52], v[51:52], v[59:60]
	v_fma_f64 v[59:60], v[57:58], s[6:7], v[0:1]
	v_fma_f64 v[57:58], v[45:46], s[6:7], v[2:3]
	v_fma_f64 v[61:62], v[45:46], s[12:13], v[2:3]
	v_add_f64 v[0:1], v[67:68], v[71:72]
	v_add_f64 v[2:3], v[69:70], v[73:74]
	v_add_f64 v[45:46], v[65:66], v[69:70]
	v_add_f64 v[69:70], v[69:70], -v[73:74]
	v_fma_f64 v[0:1], v[0:1], -0.5, v[63:64]
	v_fma_f64 v[2:3], v[2:3], -0.5, v[65:66]
	v_add_f64 v[63:64], v[63:64], v[67:68]
	v_add_f64 v[65:66], v[45:46], v[73:74]
	v_add_f64 v[45:46], v[67:68], -v[71:72]
	v_fma_f64 v[67:68], v[69:70], s[12:13], v[0:1]
	v_add_f64 v[63:64], v[63:64], v[71:72]
	v_fma_f64 v[71:72], v[69:70], s[6:7], v[0:1]
	v_fma_f64 v[69:70], v[45:46], s[6:7], v[2:3]
	v_fma_f64 v[73:74], v[45:46], s[12:13], v[2:3]
	v_add_f64 v[0:1], v[79:80], v[83:84]
	v_add_f64 v[2:3], v[81:82], v[85:86]
	;; [unrolled: 14-line block ×5, first 2 shown]
	v_add_f64 v[45:46], v[116:117], v[120:121]
	v_add_f64 v[120:121], v[120:121], -v[128:129]
	v_fma_f64 v[0:1], v[0:1], -0.5, v[114:115]
	v_fma_f64 v[2:3], v[2:3], -0.5, v[116:117]
	v_add_f64 v[116:117], v[45:46], v[128:129]
	v_add_f64 v[45:46], v[118:119], -v[126:127]
	v_add_f64 v[114:115], v[114:115], v[118:119]
	v_fma_f64 v[118:119], v[120:121], s[12:13], v[0:1]
	v_fma_f64 v[0:1], v[120:121], s[6:7], v[0:1]
	;; [unrolled: 1-line block ×4, first 2 shown]
	v_add_f64 v[114:115], v[114:115], v[126:127]
	ds_write_b128 v44, v[8:11]
	ds_write_b128 v44, v[4:7] offset:12960
	ds_write_b128 v44, v[122:125] offset:25920
	;; [unrolled: 1-line block ×29, first 2 shown]
	s_waitcnt lgkmcnt(0)
	s_barrier
	global_load_dwordx4 v[0:3], v[88:89], off offset:2016
	v_add_co_u32_e32 v80, vcc, s0, v162
	v_addc_co_u32_e32 v81, vcc, 0, v251, vcc
	s_mov_b32 s0, 0xb000
	v_add_co_u32_e32 v84, vcc, s0, v162
	v_addc_co_u32_e32 v85, vcc, 0, v251, vcc
	s_mov_b32 s0, 0xc000
	;; [unrolled: 3-line block ×6, first 2 shown]
	v_add_co_u32_e32 v92, vcc, s0, v162
	ds_read_b128 v[4:7], v44
	ds_read_b128 v[110:113], v44 offset:10368
	v_addc_co_u32_e32 v93, vcc, 0, v251, vcc
	s_mov_b32 s0, 0x11000
	v_add_co_u32_e32 v90, vcc, s0, v162
	v_addc_co_u32_e32 v91, vcc, 0, v251, vcc
	s_mov_b32 s0, 0x12000
	v_add_co_u32_e32 v88, vcc, s0, v162
	v_addc_co_u32_e32 v89, vcc, 0, v251, vcc
	global_load_dwordx4 v[106:109], v[88:89], off offset:1440
	s_mov_b32 s0, 0xa000
	ds_read_b128 v[116:119], v44 offset:14256
	ds_read_b128 v[122:125], v44 offset:22032
	s_waitcnt vmcnt(1) lgkmcnt(3)
	v_mul_f64 v[8:9], v[6:7], v[2:3]
	v_mul_f64 v[2:3], v[4:5], v[2:3]
	v_fma_f64 v[130:131], v[4:5], v[0:1], -v[8:9]
	v_fma_f64 v[132:133], v[6:7], v[0:1], v[2:3]
	global_load_dwordx4 v[0:3], v[80:81], off offset:3888
	ds_read_b128 v[4:7], v44 offset:3888
	s_waitcnt vmcnt(0) lgkmcnt(0)
	v_mul_f64 v[8:9], v[6:7], v[2:3]
	v_mul_f64 v[2:3], v[4:5], v[2:3]
	v_fma_f64 v[126:127], v[4:5], v[0:1], -v[8:9]
	v_fma_f64 v[128:129], v[6:7], v[0:1], v[2:3]
	global_load_dwordx4 v[0:3], v[84:85], off offset:1600
	;; [unrolled: 7-line block ×10, first 2 shown]
	ds_read_b128 v[4:7], v44 offset:1296
	s_waitcnt vmcnt(0) lgkmcnt(0)
	v_mul_f64 v[8:9], v[6:7], v[2:3]
	v_mul_f64 v[2:3], v[4:5], v[2:3]
	v_fma_f64 v[45:46], v[4:5], v[0:1], -v[8:9]
	v_fma_f64 v[47:48], v[6:7], v[0:1], v[2:3]
	v_add_co_u32_e32 v0, vcc, s0, v162
	v_addc_co_u32_e32 v1, vcc, 0, v251, vcc
	global_load_dwordx4 v[0:3], v[0:1], off offset:3104
	ds_read_b128 v[4:7], v44 offset:5184
	s_waitcnt vmcnt(0) lgkmcnt(0)
	v_mul_f64 v[8:9], v[6:7], v[2:3]
	v_mul_f64 v[2:3], v[4:5], v[2:3]
	v_fma_f64 v[40:41], v[4:5], v[0:1], -v[8:9]
	v_fma_f64 v[42:43], v[6:7], v[0:1], v[2:3]
	global_load_dwordx4 v[0:3], v[84:85], off offset:2896
	ds_read_b128 v[4:7], v44 offset:9072
	s_waitcnt vmcnt(0) lgkmcnt(0)
	v_mul_f64 v[8:9], v[6:7], v[2:3]
	v_mul_f64 v[2:3], v[4:5], v[2:3]
	v_fma_f64 v[36:37], v[4:5], v[0:1], -v[8:9]
	v_fma_f64 v[38:39], v[6:7], v[0:1], v[2:3]
	;; [unrolled: 7-line block ×8, first 2 shown]
	ds_read_b128 v[0:3], v44 offset:36288
	s_waitcnt lgkmcnt(0)
	v_mul_f64 v[4:5], v[2:3], v[108:109]
	v_mul_f64 v[6:7], v[0:1], v[108:109]
	v_fma_f64 v[8:9], v[0:1], v[106:107], -v[4:5]
	v_fma_f64 v[10:11], v[2:3], v[106:107], v[6:7]
	global_load_dwordx4 v[106:109], v[80:81], off offset:2592
	ds_read_b128 v[80:83], v44 offset:2592
	s_waitcnt vmcnt(0) lgkmcnt(0)
	v_mul_f64 v[0:1], v[82:83], v[108:109]
	v_mul_f64 v[2:3], v[80:81], v[108:109]
	v_fma_f64 v[80:81], v[80:81], v[106:107], -v[0:1]
	v_fma_f64 v[82:83], v[82:83], v[106:107], v[2:3]
	global_load_dwordx4 v[106:109], v[84:85], off offset:304
	ds_read_b128 v[84:87], v44 offset:6480
	s_waitcnt vmcnt(0) lgkmcnt(0)
	v_mul_f64 v[0:1], v[86:87], v[108:109]
	v_mul_f64 v[2:3], v[84:85], v[108:109]
	v_fma_f64 v[84:85], v[84:85], v[106:107], -v[0:1]
	v_fma_f64 v[86:87], v[86:87], v[106:107], v[2:3]
	global_load_dwordx4 v[106:109], v[100:101], off offset:96
	s_waitcnt vmcnt(0)
	v_mul_f64 v[0:1], v[112:113], v[108:109]
	v_mul_f64 v[2:3], v[110:111], v[108:109]
	v_fma_f64 v[108:109], v[110:111], v[106:107], -v[0:1]
	v_fma_f64 v[110:111], v[112:113], v[106:107], v[2:3]
	global_load_dwordx4 v[112:115], v[100:101], off offset:3984
	s_waitcnt vmcnt(0)
	v_mul_f64 v[0:1], v[118:119], v[114:115]
	global_load_dwordx4 v[98:101], v[98:99], off offset:3776
	v_mul_f64 v[2:3], v[116:117], v[114:115]
	v_fma_f64 v[114:115], v[116:117], v[112:113], -v[0:1]
	v_fma_f64 v[116:117], v[118:119], v[112:113], v[2:3]
	ds_read_b128 v[118:121], v44 offset:18144
	s_waitcnt vmcnt(0) lgkmcnt(0)
	v_mul_f64 v[0:1], v[120:121], v[100:101]
	v_mul_f64 v[2:3], v[118:119], v[100:101]
	v_fma_f64 v[118:119], v[118:119], v[98:99], -v[0:1]
	v_fma_f64 v[120:121], v[120:121], v[98:99], v[2:3]
	global_load_dwordx4 v[96:99], v[96:97], off offset:3568
	s_waitcnt vmcnt(0)
	v_mul_f64 v[0:1], v[124:125], v[98:99]
	v_mul_f64 v[2:3], v[122:123], v[98:99]
	v_fma_f64 v[98:99], v[122:123], v[96:97], -v[0:1]
	v_fma_f64 v[100:101], v[124:125], v[96:97], v[2:3]
	global_load_dwordx4 v[94:97], v[94:95], off offset:3360
	ds_read_b128 v[122:125], v44 offset:25920
	s_waitcnt vmcnt(0) lgkmcnt(0)
	v_mul_f64 v[0:1], v[124:125], v[96:97]
	v_mul_f64 v[2:3], v[122:123], v[96:97]
	v_fma_f64 v[122:123], v[122:123], v[94:95], -v[0:1]
	v_fma_f64 v[124:125], v[124:125], v[94:95], v[2:3]
	global_load_dwordx4 v[92:95], v[92:93], off offset:3152
	ds_read_b128 v[0:3], v44 offset:29808
	s_waitcnt vmcnt(0) lgkmcnt(0)
	v_mul_f64 v[4:5], v[2:3], v[94:95]
	v_mul_f64 v[6:7], v[0:1], v[94:95]
	ds_read_b128 v[94:97], v44 offset:33696
	v_fma_f64 v[4:5], v[0:1], v[92:93], -v[4:5]
	v_fma_f64 v[6:7], v[2:3], v[92:93], v[6:7]
	global_load_dwordx4 v[90:93], v[90:91], off offset:2944
	s_waitcnt vmcnt(0) lgkmcnt(0)
	v_mul_f64 v[0:1], v[96:97], v[92:93]
	v_mul_f64 v[2:3], v[94:95], v[92:93]
	v_fma_f64 v[92:93], v[94:95], v[90:91], -v[0:1]
	v_fma_f64 v[94:95], v[96:97], v[90:91], v[2:3]
	global_load_dwordx4 v[88:91], v[88:89], off offset:2736
	ds_read_b128 v[0:3], v44 offset:37584
	s_waitcnt vmcnt(0) lgkmcnt(0)
	v_mul_f64 v[77:78], v[2:3], v[90:91]
	v_mul_f64 v[90:91], v[0:1], v[90:91]
	v_fma_f64 v[0:1], v[0:1], v[88:89], -v[77:78]
	v_fma_f64 v[2:3], v[2:3], v[88:89], v[90:91]
	ds_write_b128 v44, v[130:133]
	ds_write_b128 v44, v[126:129] offset:3888
	ds_write_b128 v44, v[73:76] offset:7776
	;; [unrolled: 1-line block ×29, first 2 shown]
	s_waitcnt lgkmcnt(0)
	s_barrier
	ds_read_b128 v[0:3], v44
	ds_read_b128 v[4:7], v44 offset:7776
	ds_read_b128 v[8:11], v44 offset:15552
	s_waitcnt lgkmcnt(1)
	v_add_f64 v[12:13], v[0:1], v[4:5]
	s_waitcnt lgkmcnt(0)
	v_add_f64 v[24:25], v[4:5], -v[8:9]
	v_add_f64 v[26:27], v[8:9], -v[4:5]
	;; [unrolled: 1-line block ×4, first 2 shown]
	v_add_f64 v[16:17], v[12:13], v[8:9]
	v_add_f64 v[12:13], v[2:3], v[6:7]
	;; [unrolled: 1-line block ×3, first 2 shown]
	ds_read_b128 v[12:15], v44 offset:23328
	s_waitcnt lgkmcnt(0)
	v_add_f64 v[20:21], v[8:9], v[12:13]
	v_add_f64 v[22:23], v[10:11], -v[14:15]
	v_add_f64 v[28:29], v[10:11], v[14:15]
	v_add_f64 v[30:31], v[8:9], -v[12:13]
	ds_read_b128 v[8:11], v44 offset:31104
	v_fma_f64 v[20:21], v[20:21], -0.5, v[0:1]
	s_waitcnt lgkmcnt(0)
	v_add_f64 v[36:37], v[6:7], -v[10:11]
	v_add_f64 v[38:39], v[4:5], v[8:9]
	v_add_f64 v[40:41], v[4:5], -v[8:9]
	v_add_f64 v[42:43], v[6:7], v[10:11]
	v_add_f64 v[4:5], v[16:17], v[12:13]
	;; [unrolled: 1-line block ×3, first 2 shown]
	v_add_f64 v[45:46], v[8:9], -v[12:13]
	v_add_f64 v[47:48], v[12:13], -v[8:9]
	v_add_f64 v[49:50], v[10:11], -v[14:15]
	v_add_f64 v[51:52], v[14:15], -v[10:11]
	v_fma_f64 v[28:29], v[28:29], -0.5, v[2:3]
	v_fma_f64 v[2:3], v[42:43], -0.5, v[2:3]
	v_add_f64 v[53:54], v[4:5], v[8:9]
	v_add_f64 v[55:56], v[6:7], v[10:11]
	ds_read_b128 v[4:7], v44 offset:3888
	ds_read_b128 v[8:11], v44 offset:11664
	;; [unrolled: 1-line block ×3, first 2 shown]
	v_fma_f64 v[0:1], v[38:39], -0.5, v[0:1]
	v_add_f64 v[26:27], v[26:27], v[47:48]
	s_waitcnt lgkmcnt(1)
	v_add_f64 v[16:17], v[4:5], v[8:9]
	s_waitcnt lgkmcnt(0)
	v_add_f64 v[65:66], v[8:9], -v[12:13]
	v_add_f64 v[67:68], v[12:13], -v[8:9]
	;; [unrolled: 1-line block ×4, first 2 shown]
	v_add_f64 v[57:58], v[16:17], v[12:13]
	v_add_f64 v[16:17], v[6:7], v[10:11]
	;; [unrolled: 1-line block ×3, first 2 shown]
	ds_read_b128 v[16:19], v44 offset:27216
	s_waitcnt lgkmcnt(0)
	v_add_f64 v[69:70], v[14:15], v[18:19]
	v_add_f64 v[57:58], v[57:58], v[16:17]
	;; [unrolled: 1-line block ×3, first 2 shown]
	v_add_f64 v[63:64], v[14:15], -v[18:19]
	v_add_f64 v[71:72], v[12:13], -v[16:17]
	ds_read_b128 v[12:15], v44 offset:34992
	v_add_f64 v[59:60], v[59:60], v[18:19]
	v_fma_f64 v[42:43], v[69:70], -0.5, v[6:7]
	s_waitcnt lgkmcnt(0)
	v_add_f64 v[79:80], v[8:9], v[12:13]
	v_add_f64 v[8:9], v[8:9], -v[12:13]
	v_add_f64 v[81:82], v[12:13], -v[16:17]
	;; [unrolled: 1-line block ×3, first 2 shown]
	v_add_f64 v[12:13], v[57:58], v[12:13]
	v_add_f64 v[77:78], v[10:11], -v[14:15]
	v_add_f64 v[10:11], v[10:11], v[14:15]
	v_add_f64 v[83:84], v[14:15], -v[18:19]
	v_fma_f64 v[38:39], v[61:62], -0.5, v[4:5]
	v_add_f64 v[18:19], v[18:19], -v[14:15]
	v_add_f64 v[14:15], v[59:60], v[14:15]
	v_fma_f64 v[4:5], v[79:80], -0.5, v[4:5]
	v_add_f64 v[120:121], v[53:54], v[12:13]
	v_add_f64 v[116:117], v[53:54], -v[12:13]
	v_add_f64 v[12:13], v[32:33], v[49:50]
	v_fma_f64 v[32:33], v[8:9], s[16:17], v[42:43]
	v_fma_f64 v[6:7], v[10:11], -0.5, v[6:7]
	v_add_f64 v[10:11], v[24:25], v[45:46]
	v_add_f64 v[24:25], v[73:74], v[83:84]
	v_fma_f64 v[45:46], v[77:78], s[20:21], v[38:39]
	v_add_f64 v[122:123], v[55:56], v[14:15]
	v_add_f64 v[118:119], v[55:56], -v[14:15]
	v_add_f64 v[14:15], v[65:66], v[81:82]
	v_fma_f64 v[32:33], v[71:72], s[18:19], v[32:33]
	v_fma_f64 v[53:54], v[40:41], s[16:17], v[28:29]
	v_add_f64 v[18:19], v[75:76], v[18:19]
	v_add_f64 v[16:17], v[67:68], v[16:17]
	v_fma_f64 v[45:46], v[63:64], s[24:25], v[45:46]
	v_fma_f64 v[32:33], v[24:25], s[22:23], v[32:33]
	;; [unrolled: 1-line block ×4, first 2 shown]
	v_mul_f64 v[49:50], v[32:33], s[24:25]
	v_fma_f64 v[53:54], v[12:13], s[22:23], v[53:54]
	v_fma_f64 v[49:50], v[45:46], s[30:31], v[49:50]
	v_mul_f64 v[45:46], v[45:46], s[18:19]
	v_fma_f64 v[32:33], v[32:33], s[30:31], v[45:46]
	v_fma_f64 v[45:46], v[36:37], s[20:21], v[20:21]
	v_add_f64 v[110:111], v[53:54], v[32:33]
	v_fma_f64 v[45:46], v[22:23], s[24:25], v[45:46]
	v_add_f64 v[114:115], v[53:54], -v[32:33]
	v_add_f64 v[32:33], v[34:35], v[51:52]
	v_fma_f64 v[34:35], v[71:72], s[20:21], v[6:7]
	v_fma_f64 v[6:7], v[71:72], s[16:17], v[6:7]
	;; [unrolled: 1-line block ×5, first 2 shown]
	v_add_f64 v[108:109], v[45:46], v[49:50]
	v_add_f64 v[112:113], v[45:46], -v[49:50]
	v_fma_f64 v[45:46], v[63:64], s[16:17], v[4:5]
	v_fma_f64 v[34:35], v[18:19], s[22:23], v[34:35]
	;; [unrolled: 1-line block ×7, first 2 shown]
	v_mul_f64 v[47:48], v[34:35], s[20:21]
	v_mul_f64 v[34:35], v[34:35], s[22:23]
	v_fma_f64 v[4:5], v[77:78], s[18:19], v[4:5]
	v_fma_f64 v[49:50], v[40:41], s[18:19], v[49:50]
	;; [unrolled: 1-line block ×5, first 2 shown]
	v_mul_f64 v[16:17], v[6:7], s[20:21]
	v_mul_f64 v[6:7], v[6:7], s[28:29]
	v_fma_f64 v[2:3], v[32:33], s[22:23], v[2:3]
	v_fma_f64 v[49:50], v[32:33], s[22:23], v[49:50]
	;; [unrolled: 1-line block ×9, first 2 shown]
	v_add_f64 v[102:103], v[49:50], v[34:35]
	v_fma_f64 v[45:46], v[36:37], s[24:25], v[45:46]
	v_fma_f64 v[0:1], v[36:37], s[18:19], v[0:1]
	v_add_f64 v[106:107], v[49:50], -v[34:35]
	v_add_f64 v[94:95], v[2:3], v[4:5]
	v_add_f64 v[98:99], v[2:3], -v[4:5]
	v_fma_f64 v[2:3], v[36:37], s[16:17], v[20:21]
	v_fma_f64 v[4:5], v[40:41], s[20:21], v[28:29]
	;; [unrolled: 1-line block ×8, first 2 shown]
	v_add_f64 v[100:101], v[45:46], v[47:48]
	v_add_f64 v[92:93], v[0:1], v[16:17]
	v_add_f64 v[96:97], v[0:1], -v[16:17]
	v_fma_f64 v[0:1], v[8:9], s[20:21], v[42:43]
	v_add_f64 v[104:105], v[45:46], -v[47:48]
	v_fma_f64 v[2:3], v[10:11], s[22:23], v[2:3]
	v_fma_f64 v[4:5], v[12:13], s[22:23], v[4:5]
	;; [unrolled: 1-line block ×4, first 2 shown]
	v_mul_f64 v[8:9], v[0:1], s[24:25]
	v_mul_f64 v[0:1], v[0:1], s[26:27]
	v_fma_f64 v[8:9], v[6:7], s[26:27], v[8:9]
	v_fma_f64 v[0:1], v[6:7], s[18:19], v[0:1]
	v_add_f64 v[84:85], v[2:3], v[8:9]
	v_add_f64 v[86:87], v[4:5], v[0:1]
	v_add_f64 v[88:89], v[2:3], -v[8:9]
	v_add_f64 v[90:91], v[4:5], -v[0:1]
	ds_read_b128 v[72:75], v44 offset:1296
	ds_read_b128 v[68:71], v44 offset:5184
	;; [unrolled: 1-line block ×20, first 2 shown]
	s_waitcnt lgkmcnt(0)
	s_barrier
	ds_write_b128 v253, v[120:123]
	ds_write_b128 v253, v[108:111] offset:16
	ds_write_b128 v253, v[100:103] offset:32
	;; [unrolled: 1-line block ×9, first 2 shown]
	v_add_f64 v[53:54], v[72:73], v[4:5]
	v_add_f64 v[84:85], v[74:75], v[6:7]
	;; [unrolled: 1-line block ×3, first 2 shown]
	v_add_f64 v[88:89], v[2:3], -v[10:11]
	v_add_f64 v[90:91], v[4:5], -v[0:1]
	;; [unrolled: 1-line block ×3, first 2 shown]
	v_add_f64 v[94:95], v[2:3], v[10:11]
	v_add_f64 v[96:97], v[0:1], -v[8:9]
	v_add_f64 v[53:54], v[53:54], v[0:1]
	v_add_f64 v[84:85], v[84:85], v[2:3]
	v_add_f64 v[98:99], v[6:7], -v[2:3]
	v_add_f64 v[100:101], v[2:3], -v[6:7]
	;; [unrolled: 1-line block ×3, first 2 shown]
	v_add_f64 v[0:1], v[4:5], v[12:13]
	v_add_f64 v[104:105], v[4:5], -v[12:13]
	v_add_f64 v[2:3], v[6:7], v[14:15]
	v_add_f64 v[4:5], v[53:54], v[8:9]
	;; [unrolled: 1-line block ×3, first 2 shown]
	v_add_f64 v[53:54], v[12:13], -v[8:9]
	v_add_f64 v[84:85], v[8:9], -v[12:13]
	;; [unrolled: 1-line block ×4, first 2 shown]
	v_add_f64 v[10:11], v[68:69], v[20:21]
	v_add_f64 v[114:115], v[18:19], v[78:79]
	;; [unrolled: 1-line block ×6, first 2 shown]
	v_add_f64 v[108:109], v[18:19], -v[78:79]
	v_add_f64 v[110:111], v[20:21], -v[16:17]
	v_add_f64 v[10:11], v[10:11], v[16:17]
	v_add_f64 v[112:113], v[16:17], -v[20:21]
	v_add_f64 v[116:117], v[16:17], -v[76:77]
	v_add_f64 v[12:13], v[12:13], v[18:19]
	v_add_f64 v[16:17], v[22:23], -v[18:19]
	v_add_f64 v[18:19], v[18:19], -v[22:23]
	;; [unrolled: 1-line block ×3, first 2 shown]
	v_add_f64 v[120:121], v[20:21], v[24:25]
	v_add_f64 v[10:11], v[10:11], v[76:77]
	v_add_f64 v[122:123], v[20:21], -v[24:25]
	v_add_f64 v[20:21], v[22:23], v[26:27]
	v_add_f64 v[12:13], v[12:13], v[78:79]
	v_add_f64 v[22:23], v[24:25], -v[76:77]
	v_add_f64 v[76:77], v[76:77], -v[24:25]
	v_fma_f64 v[86:87], v[86:87], -0.5, v[72:73]
	v_add_f64 v[124:125], v[26:27], -v[78:79]
	v_add_f64 v[10:11], v[10:11], v[24:25]
	v_fma_f64 v[24:25], v[0:1], -0.5, v[72:73]
	v_fma_f64 v[72:73], v[94:95], -0.5, v[74:75]
	;; [unrolled: 1-line block ×3, first 2 shown]
	v_add_f64 v[78:79], v[78:79], -v[26:27]
	v_add_f64 v[12:13], v[12:13], v[26:27]
	v_fma_f64 v[26:27], v[2:3], -0.5, v[74:75]
	v_fma_f64 v[74:75], v[14:15], -0.5, v[68:69]
	v_add_f64 v[53:54], v[90:91], v[53:54]
	v_add_f64 v[90:91], v[98:99], v[8:9]
	;; [unrolled: 1-line block ×3, first 2 shown]
	v_fma_f64 v[8:9], v[122:123], s[16:17], v[94:95]
	v_add_f64 v[4:5], v[4:5], -v[10:11]
	v_add_f64 v[98:99], v[110:111], v[22:23]
	v_add_f64 v[110:111], v[16:17], v[124:125]
	v_fma_f64 v[10:11], v[118:119], s[20:21], v[74:75]
	v_add_f64 v[2:3], v[6:7], v[12:13]
	v_add_f64 v[6:7], v[6:7], -v[12:13]
	v_fma_f64 v[70:71], v[20:21], -0.5, v[70:71]
	v_fma_f64 v[8:9], v[116:117], s[18:19], v[8:9]
	v_fma_f64 v[68:69], v[120:121], -0.5, v[68:69]
	v_add_f64 v[78:79], v[18:19], v[78:79]
	v_add_f64 v[76:77], v[112:113], v[76:77]
	v_fma_f64 v[10:11], v[108:109], s[24:25], v[10:11]
	v_add_f64 v[84:85], v[92:93], v[84:85]
	v_add_f64 v[92:93], v[100:101], v[106:107]
	v_fma_f64 v[74:75], v[118:119], s[16:17], v[74:75]
	v_fma_f64 v[8:9], v[110:111], s[22:23], v[8:9]
	;; [unrolled: 1-line block ×5, first 2 shown]
	v_mul_f64 v[12:13], v[8:9], s[24:25]
	v_fma_f64 v[18:19], v[118:119], s[24:25], v[18:19]
	v_fma_f64 v[12:13], v[10:11], s[30:31], v[12:13]
	v_mul_f64 v[10:11], v[10:11], s[18:19]
	v_fma_f64 v[18:19], v[76:77], s[22:23], v[18:19]
	v_fma_f64 v[14:15], v[8:9], s[30:31], v[10:11]
	;; [unrolled: 1-line block ×10, first 2 shown]
	v_add_f64 v[8:9], v[16:17], v[12:13]
	v_add_f64 v[12:13], v[16:17], -v[12:13]
	v_fma_f64 v[16:17], v[116:117], s[20:21], v[70:71]
	v_add_f64 v[10:11], v[20:21], v[14:15]
	v_add_f64 v[14:15], v[20:21], -v[14:15]
	v_fma_f64 v[16:17], v[122:123], s[18:19], v[16:17]
	v_fma_f64 v[16:17], v[78:79], s[22:23], v[16:17]
	v_mul_f64 v[20:21], v[16:17], s[20:21]
	v_mul_f64 v[16:17], v[16:17], s[22:23]
	v_fma_f64 v[20:21], v[18:19], s[22:23], v[20:21]
	v_fma_f64 v[22:23], v[18:19], s[16:17], v[16:17]
	;; [unrolled: 1-line block ×13, first 2 shown]
	v_add_f64 v[16:17], v[100:101], v[20:21]
	v_add_f64 v[20:21], v[100:101], -v[20:21]
	v_fma_f64 v[24:25], v[104:105], s[24:25], v[24:25]
	v_fma_f64 v[26:27], v[118:119], s[18:19], v[26:27]
	v_add_f64 v[18:19], v[106:107], v[22:23]
	v_add_f64 v[22:23], v[106:107], -v[22:23]
	v_fma_f64 v[92:93], v[92:93], s[22:23], v[24:25]
	v_fma_f64 v[24:25], v[116:117], s[16:17], v[70:71]
	;; [unrolled: 1-line block ×9, first 2 shown]
	v_mul_f64 v[68:69], v[24:25], s[20:21]
	v_fma_f64 v[78:79], v[88:89], s[18:19], v[78:79]
	v_mul_f64 v[24:25], v[24:25], s[28:29]
	v_fma_f64 v[68:69], v[26:27], s[28:29], v[68:69]
	v_fma_f64 v[53:54], v[53:54], s[22:23], v[78:79]
	;; [unrolled: 1-line block ×4, first 2 shown]
	v_mul_f64 v[74:75], v[76:77], s[24:25]
	v_mul_f64 v[76:77], v[76:77], s[26:27]
	v_fma_f64 v[70:71], v[26:27], s[16:17], v[24:25]
	v_add_f64 v[24:25], v[84:85], v[68:69]
	v_add_f64 v[68:69], v[84:85], -v[68:69]
	v_fma_f64 v[84:85], v[72:73], s[26:27], v[74:75]
	v_fma_f64 v[86:87], v[72:73], s[18:19], v[76:77]
	v_add_f64 v[26:27], v[92:93], v[70:71]
	v_add_f64 v[70:71], v[92:93], -v[70:71]
	v_add_f64 v[72:73], v[53:54], v[84:85]
	v_add_f64 v[74:75], v[78:79], v[86:87]
	v_add_f64 v[76:77], v[53:54], -v[84:85]
	v_add_f64 v[78:79], v[78:79], -v[86:87]
	ds_write_b128 v254, v[0:3]
	ds_write_b128 v254, v[8:11] offset:16
	ds_write_b128 v254, v[16:19] offset:32
	;; [unrolled: 1-line block ×9, first 2 shown]
	v_add_f64 v[0:1], v[64:65], v[32:33]
	v_add_f64 v[2:3], v[66:67], v[34:35]
	v_add_f64 v[8:9], v[32:33], -v[36:37]
	v_add_f64 v[16:17], v[36:37], -v[32:33]
	v_add_f64 v[12:13], v[32:33], v[28:29]
	v_add_f64 v[32:33], v[32:33], -v[28:29]
	v_add_f64 v[20:21], v[28:29], -v[40:41]
	;; [unrolled: 1-line block ×3, first 2 shown]
	v_add_f64 v[0:1], v[0:1], v[36:37]
	v_add_f64 v[2:3], v[2:3], v[38:39]
	v_add_f64 v[53:54], v[38:39], -v[42:43]
	v_add_f64 v[6:7], v[38:39], v[42:43]
	v_add_f64 v[10:11], v[34:35], -v[38:39]
	v_add_f64 v[18:19], v[38:39], -v[34:35]
	;; [unrolled: 1-line block ×3, first 2 shown]
	v_add_f64 v[14:15], v[34:35], v[30:31]
	v_add_f64 v[0:1], v[0:1], v[40:41]
	;; [unrolled: 1-line block ×3, first 2 shown]
	v_add_f64 v[24:25], v[30:31], -v[42:43]
	v_add_f64 v[26:27], v[42:43], -v[30:31]
	v_add_f64 v[70:71], v[47:48], v[58:59]
	v_add_f64 v[4:5], v[36:37], v[40:41]
	v_add_f64 v[36:37], v[36:37], -v[40:41]
	v_add_f64 v[34:35], v[45:46], v[56:57]
	v_add_f64 v[28:29], v[0:1], v[28:29]
	;; [unrolled: 1-line block ×5, first 2 shown]
	v_add_f64 v[40:41], v[47:48], -v[58:59]
	v_add_f64 v[42:43], v[49:50], -v[45:46]
	;; [unrolled: 1-line block ×3, first 2 shown]
	v_add_f64 v[76:77], v[49:50], v[60:61]
	v_add_f64 v[49:50], v[49:50], -v[60:61]
	v_add_f64 v[0:1], v[0:1], v[45:46]
	v_add_f64 v[45:46], v[45:46], -v[56:57]
	;; [unrolled: 2-line block ×3, first 2 shown]
	v_add_f64 v[84:85], v[62:63], -v[58:59]
	v_fma_f64 v[70:71], v[70:71], -0.5, v[82:83]
	v_add_f64 v[72:73], v[51:52], -v[47:48]
	v_add_f64 v[47:48], v[47:48], -v[51:52]
	v_add_f64 v[0:1], v[0:1], v[56:57]
	v_add_f64 v[55:56], v[56:57], -v[60:61]
	v_add_f64 v[2:3], v[2:3], v[58:59]
	v_add_f64 v[57:58], v[58:59], -v[62:63]
	v_add_f64 v[74:75], v[51:52], -v[62:63]
	v_add_f64 v[51:52], v[51:52], v[62:63]
	v_fma_f64 v[86:87], v[4:5], -0.5, v[64:65]
	v_fma_f64 v[34:35], v[34:35], -0.5, v[80:81]
	v_add_f64 v[59:60], v[0:1], v[60:61]
	v_fma_f64 v[88:89], v[6:7], -0.5, v[66:67]
	v_add_f64 v[61:62], v[2:3], v[62:63]
	v_add_f64 v[72:73], v[72:73], v[84:85]
	v_add_f64 v[42:43], v[42:43], v[78:79]
	v_fma_f64 v[63:64], v[12:13], -0.5, v[64:65]
	v_fma_f64 v[65:66], v[14:15], -0.5, v[66:67]
	;; [unrolled: 1-line block ×3, first 2 shown]
	v_add_f64 v[0:1], v[28:29], v[59:60]
	v_add_f64 v[4:5], v[28:29], -v[59:60]
	v_add_f64 v[59:60], v[8:9], v[20:21]
	v_fma_f64 v[8:9], v[49:50], s[16:17], v[70:71]
	v_add_f64 v[2:3], v[30:31], v[61:62]
	v_add_f64 v[6:7], v[30:31], -v[61:62]
	v_add_f64 v[61:62], v[10:11], v[24:25]
	v_fma_f64 v[10:11], v[74:75], s[20:21], v[34:35]
	v_fma_f64 v[76:77], v[76:77], -0.5, v[80:81]
	v_add_f64 v[26:27], v[18:19], v[26:27]
	v_add_f64 v[30:31], v[47:48], v[57:58]
	v_fma_f64 v[8:9], v[45:46], s[18:19], v[8:9]
	v_add_f64 v[28:29], v[68:69], v[55:56]
	v_fma_f64 v[34:35], v[74:75], s[16:17], v[34:35]
	v_fma_f64 v[10:11], v[40:41], s[24:25], v[10:11]
	;; [unrolled: 1-line block ×7, first 2 shown]
	v_mul_f64 v[12:13], v[8:9], s[24:25]
	v_fma_f64 v[18:19], v[28:29], s[22:23], v[18:19]
	v_fma_f64 v[12:13], v[10:11], s[30:31], v[12:13]
	v_mul_f64 v[10:11], v[10:11], s[18:19]
	v_fma_f64 v[14:15], v[8:9], s[30:31], v[10:11]
	v_fma_f64 v[10:11], v[32:33], s[16:17], v[88:89]
	;; [unrolled: 1-line block ×7, first 2 shown]
	v_add_f64 v[10:11], v[24:25], v[14:15]
	v_add_f64 v[14:15], v[24:25], -v[14:15]
	v_add_f64 v[24:25], v[16:17], v[22:23]
	v_fma_f64 v[16:17], v[45:46], s[20:21], v[51:52]
	v_add_f64 v[8:9], v[20:21], v[12:13]
	v_add_f64 v[12:13], v[20:21], -v[12:13]
	v_fma_f64 v[16:17], v[49:50], s[18:19], v[16:17]
	v_fma_f64 v[16:17], v[30:31], s[22:23], v[16:17]
	v_mul_f64 v[20:21], v[16:17], s[20:21]
	v_mul_f64 v[16:17], v[16:17], s[22:23]
	v_fma_f64 v[20:21], v[18:19], s[22:23], v[20:21]
	v_fma_f64 v[22:23], v[18:19], s[16:17], v[16:17]
	;; [unrolled: 1-line block ×8, first 2 shown]
	v_add_f64 v[16:17], v[47:48], v[20:21]
	v_add_f64 v[20:21], v[47:48], -v[20:21]
	v_fma_f64 v[47:48], v[53:54], s[20:21], v[63:64]
	v_add_f64 v[18:19], v[55:56], v[22:23]
	v_add_f64 v[22:23], v[55:56], -v[22:23]
	v_fma_f64 v[47:48], v[38:39], s[18:19], v[47:48]
	v_fma_f64 v[38:39], v[38:39], s[16:17], v[86:87]
	v_fma_f64 v[47:48], v[24:25], s[22:23], v[47:48]
	v_fma_f64 v[24:25], v[36:37], s[16:17], v[65:66]
	v_fma_f64 v[38:39], v[53:54], s[18:19], v[38:39]
	v_fma_f64 v[24:25], v[32:33], s[24:25], v[24:25]
	v_fma_f64 v[32:33], v[32:33], s[20:21], v[88:89]
	v_fma_f64 v[38:39], v[59:60], s[22:23], v[38:39]
	v_fma_f64 v[55:56], v[26:27], s[22:23], v[24:25]
	v_fma_f64 v[24:25], v[45:46], s[16:17], v[51:52]
	v_fma_f64 v[26:27], v[40:41], s[20:21], v[76:77]
	v_fma_f64 v[32:33], v[36:37], s[24:25], v[32:33]
	v_fma_f64 v[24:25], v[49:50], s[24:25], v[24:25]
	v_fma_f64 v[26:27], v[74:75], s[18:19], v[26:27]
	v_fma_f64 v[40:41], v[61:62], s[22:23], v[32:33]
	v_fma_f64 v[32:33], v[42:43], s[22:23], v[34:35]
	v_fma_f64 v[24:25], v[30:31], s[22:23], v[24:25]
	v_fma_f64 v[26:27], v[28:29], s[22:23], v[26:27]
	v_mul_f64 v[28:29], v[24:25], s[20:21]
	v_mul_f64 v[24:25], v[24:25], s[28:29]
	v_fma_f64 v[28:29], v[26:27], s[28:29], v[28:29]
	v_fma_f64 v[30:31], v[26:27], s[16:17], v[24:25]
	v_add_f64 v[24:25], v[47:48], v[28:29]
	v_add_f64 v[28:29], v[47:48], -v[28:29]
	v_fma_f64 v[47:48], v[49:50], s[20:21], v[70:71]
	v_add_f64 v[26:27], v[55:56], v[30:31]
	v_add_f64 v[30:31], v[55:56], -v[30:31]
	v_fma_f64 v[45:46], v[45:46], s[24:25], v[47:48]
	v_fma_f64 v[36:37], v[72:73], s[22:23], v[45:46]
	v_mul_f64 v[34:35], v[36:37], s[24:25]
	v_mul_f64 v[36:37], v[36:37], s[26:27]
	v_fma_f64 v[42:43], v[32:33], s[26:27], v[34:35]
	v_fma_f64 v[45:46], v[32:33], s[18:19], v[36:37]
	v_add_f64 v[32:33], v[38:39], v[42:43]
	v_add_f64 v[34:35], v[40:41], v[45:46]
	v_add_f64 v[36:37], v[38:39], -v[42:43]
	v_add_f64 v[38:39], v[40:41], -v[45:46]
	ds_write_b128 v252, v[0:3]
	ds_write_b128 v252, v[8:11] offset:16
	ds_write_b128 v252, v[16:19] offset:32
	;; [unrolled: 1-line block ×9, first 2 shown]
	s_waitcnt lgkmcnt(0)
	s_barrier
	ds_read_b128 v[0:3], v44 offset:12960
	buffer_load_dword v6, off, s[40:43], 0 offset:632 ; 4-byte Folded Reload
	buffer_load_dword v7, off, s[40:43], 0 offset:636 ; 4-byte Folded Reload
	buffer_load_dword v8, off, s[40:43], 0 offset:640 ; 4-byte Folded Reload
	buffer_load_dword v9, off, s[40:43], 0 offset:644 ; 4-byte Folded Reload
	s_waitcnt vmcnt(0) lgkmcnt(0)
	v_mul_f64 v[4:5], v[8:9], v[2:3]
	v_fma_f64 v[4:5], v[6:7], v[0:1], v[4:5]
	v_mul_f64 v[0:1], v[8:9], v[0:1]
	v_fma_f64 v[6:7], v[6:7], v[2:3], -v[0:1]
	ds_read_b128 v[0:3], v44 offset:25920
	buffer_load_dword v10, off, s[40:43], 0 offset:584 ; 4-byte Folded Reload
	buffer_load_dword v11, off, s[40:43], 0 offset:588 ; 4-byte Folded Reload
	buffer_load_dword v12, off, s[40:43], 0 offset:592 ; 4-byte Folded Reload
	buffer_load_dword v13, off, s[40:43], 0 offset:596 ; 4-byte Folded Reload
	s_waitcnt vmcnt(0) lgkmcnt(0)
	v_mul_f64 v[8:9], v[12:13], v[2:3]
	v_fma_f64 v[8:9], v[10:11], v[0:1], v[8:9]
	v_mul_f64 v[0:1], v[12:13], v[0:1]
	v_fma_f64 v[10:11], v[10:11], v[2:3], -v[0:1]
	;; [unrolled: 10-line block ×19, first 2 shown]
	ds_read_b128 v[0:3], v44 offset:37584
	buffer_load_dword v14, off, s[40:43], 0 offset:944 ; 4-byte Folded Reload
	buffer_load_dword v15, off, s[40:43], 0 offset:948 ; 4-byte Folded Reload
	;; [unrolled: 1-line block ×4, first 2 shown]
	s_waitcnt vmcnt(0) lgkmcnt(0)
	v_mul_f64 v[12:13], v[16:17], v[2:3]
	v_fma_f64 v[28:29], v[14:15], v[0:1], v[12:13]
	v_mul_f64 v[0:1], v[16:17], v[0:1]
	v_add_f64 v[12:13], v[4:5], v[8:9]
	v_fma_f64 v[30:31], v[14:15], v[2:3], -v[0:1]
	ds_read_b128 v[0:3], v44
	v_add_f64 v[14:15], v[6:7], v[10:11]
	s_waitcnt lgkmcnt(0)
	v_fma_f64 v[12:13], v[12:13], -0.5, v[0:1]
	v_add_f64 v[0:1], v[0:1], v[4:5]
	v_fma_f64 v[14:15], v[14:15], -0.5, v[2:3]
	v_add_f64 v[2:3], v[2:3], v[6:7]
	v_add_f64 v[6:7], v[6:7], -v[10:11]
	v_add_f64 v[98:99], v[0:1], v[8:9]
	v_add_f64 v[0:1], v[4:5], -v[8:9]
	v_add_f64 v[100:101], v[2:3], v[10:11]
	v_fma_f64 v[102:103], v[6:7], s[6:7], v[12:13]
	v_fma_f64 v[106:107], v[6:7], s[12:13], v[12:13]
	v_fma_f64 v[104:105], v[0:1], s[12:13], v[14:15]
	v_fma_f64 v[108:109], v[0:1], s[6:7], v[14:15]
	ds_read_b128 v[110:113], v44 offset:1296
	ds_read_b128 v[114:117], v44 offset:2592
	;; [unrolled: 1-line block ×9, first 2 shown]
	s_waitcnt lgkmcnt(0)
	s_barrier
	buffer_load_dword v45, off, s[40:43], 0 offset:1164 ; 4-byte Folded Reload
	s_waitcnt vmcnt(0)
	ds_write_b128 v45, v[98:101]
	ds_write_b128 v45, v[102:105] offset:160
	ds_write_b128 v45, v[106:109] offset:320
	buffer_load_dword v45, off, s[40:43], 0 offset:1140 ; 4-byte Folded Reload
	v_add_f64 v[98:99], v[88:89], v[92:93]
	v_add_f64 v[106:107], v[110:111], v[88:89]
	v_fma_f64 v[102:103], v[98:99], -0.5, v[110:111]
	v_add_f64 v[98:99], v[90:91], v[94:95]
	v_fma_f64 v[104:105], v[98:99], -0.5, v[112:113]
	v_add_f64 v[98:99], v[112:113], v[90:91]
	v_add_f64 v[90:91], v[90:91], -v[94:95]
	v_add_f64 v[100:101], v[98:99], v[94:95]
	v_add_f64 v[94:95], v[88:89], -v[92:93]
	v_add_f64 v[98:99], v[106:107], v[92:93]
	v_fma_f64 v[88:89], v[90:91], s[6:7], v[102:103]
	v_fma_f64 v[92:93], v[90:91], s[12:13], v[102:103]
	;; [unrolled: 1-line block ×4, first 2 shown]
	s_waitcnt vmcnt(0)
	ds_write_b128 v45, v[98:101]
	ds_write_b128 v45, v[88:91] offset:160
	ds_write_b128 v45, v[92:95] offset:320
	buffer_load_dword v45, off, s[40:43], 0 offset:1068 ; 4-byte Folded Reload
	v_add_f64 v[88:89], v[80:81], v[84:85]
	v_add_f64 v[94:95], v[114:115], v[80:81]
	v_fma_f64 v[90:91], v[88:89], -0.5, v[114:115]
	v_add_f64 v[88:89], v[82:83], v[86:87]
	v_fma_f64 v[92:93], v[88:89], -0.5, v[116:117]
	v_add_f64 v[88:89], v[116:117], v[82:83]
	v_add_f64 v[82:83], v[82:83], -v[86:87]
	v_add_f64 v[88:89], v[88:89], v[86:87]
	v_add_f64 v[86:87], v[94:95], v[84:85]
	v_add_f64 v[84:85], v[80:81], -v[84:85]
	v_fma_f64 v[80:81], v[82:83], s[6:7], v[90:91]
	v_fma_f64 v[90:91], v[82:83], s[12:13], v[90:91]
	v_fma_f64 v[82:83], v[84:85], s[12:13], v[92:93]
	v_fma_f64 v[92:93], v[84:85], s[6:7], v[92:93]
	s_waitcnt vmcnt(0)
	ds_write_b128 v45, v[86:89]
	ds_write_b128 v45, v[80:83] offset:160
	ds_write_b128 v45, v[90:93] offset:320
	buffer_load_dword v45, off, s[40:43], 0 offset:996 ; 4-byte Folded Reload
	v_add_f64 v[80:81], v[72:73], v[76:77]
	v_add_f64 v[86:87], v[118:119], v[72:73]
	v_fma_f64 v[82:83], v[80:81], -0.5, v[118:119]
	v_add_f64 v[80:81], v[74:75], v[78:79]
	v_fma_f64 v[84:85], v[80:81], -0.5, v[120:121]
	v_add_f64 v[80:81], v[120:121], v[74:75]
	v_add_f64 v[74:75], v[74:75], -v[78:79]
	v_add_f64 v[80:81], v[80:81], v[78:79]
	v_add_f64 v[78:79], v[86:87], v[76:77]
	v_add_f64 v[76:77], v[72:73], -v[76:77]
	v_fma_f64 v[72:73], v[74:75], s[6:7], v[82:83]
	v_fma_f64 v[82:83], v[74:75], s[12:13], v[82:83]
	;; [unrolled: 1-line block ×4, first 2 shown]
	s_waitcnt vmcnt(0)
	ds_write_b128 v45, v[78:81]
	ds_write_b128 v45, v[72:75] offset:160
	ds_write_b128 v45, v[82:85] offset:320
	buffer_load_dword v45, off, s[40:43], 0 offset:924 ; 4-byte Folded Reload
	v_add_f64 v[74:75], v[66:67], v[70:71]
	v_add_f64 v[72:73], v[64:65], v[68:69]
	v_fma_f64 v[74:75], v[74:75], -0.5, v[22:23]
	v_add_f64 v[22:23], v[22:23], v[66:67]
	v_fma_f64 v[72:73], v[72:73], -0.5, v[20:21]
	v_add_f64 v[20:21], v[20:21], v[64:65]
	v_add_f64 v[66:67], v[66:67], -v[70:71]
	v_add_f64 v[22:23], v[22:23], v[70:71]
	v_add_f64 v[70:71], v[64:65], -v[68:69]
	v_add_f64 v[20:21], v[20:21], v[68:69]
	v_fma_f64 v[64:65], v[66:67], s[6:7], v[72:73]
	v_fma_f64 v[68:69], v[66:67], s[12:13], v[72:73]
	v_fma_f64 v[66:67], v[70:71], s[12:13], v[74:75]
	v_fma_f64 v[70:71], v[70:71], s[6:7], v[74:75]
	s_waitcnt vmcnt(0)
	ds_write_b128 v45, v[20:23]
	ds_write_b128 v45, v[64:67] offset:160
	ds_write_b128 v45, v[68:71] offset:320
	buffer_load_dword v45, off, s[40:43], 0 offset:872 ; 4-byte Folded Reload
	v_add_f64 v[20:21], v[56:57], v[60:61]
	v_fma_f64 v[22:23], v[20:21], -0.5, v[16:17]
	v_add_f64 v[20:21], v[58:59], v[62:63]
	v_add_f64 v[16:17], v[16:17], v[56:57]
	v_fma_f64 v[64:65], v[20:21], -0.5, v[18:19]
	v_add_f64 v[18:19], v[18:19], v[58:59]
	v_add_f64 v[58:59], v[58:59], -v[62:63]
	v_add_f64 v[16:17], v[16:17], v[60:61]
	v_add_f64 v[60:61], v[56:57], -v[60:61]
	v_add_f64 v[18:19], v[18:19], v[62:63]
	v_fma_f64 v[20:21], v[58:59], s[6:7], v[22:23]
	v_fma_f64 v[56:57], v[58:59], s[12:13], v[22:23]
	;; [unrolled: 1-line block ×4, first 2 shown]
	s_waitcnt vmcnt(0)
	ds_write_b128 v45, v[16:19]
	ds_write_b128 v45, v[20:23] offset:160
	ds_write_b128 v45, v[56:59] offset:320
	buffer_load_dword v45, off, s[40:43], 0 offset:820 ; 4-byte Folded Reload
	v_add_f64 v[16:17], v[48:49], v[52:53]
	v_add_f64 v[20:21], v[50:51], -v[54:55]
	v_fma_f64 v[18:19], v[16:17], -0.5, v[12:13]
	v_add_f64 v[16:17], v[50:51], v[54:55]
	v_add_f64 v[12:13], v[12:13], v[48:49]
	v_add_f64 v[48:49], v[48:49], -v[52:53]
	v_fma_f64 v[22:23], v[16:17], -0.5, v[14:15]
	v_add_f64 v[14:15], v[14:15], v[50:51]
	v_add_f64 v[12:13], v[12:13], v[52:53]
	v_fma_f64 v[16:17], v[20:21], s[6:7], v[18:19]
	v_fma_f64 v[20:21], v[20:21], s[12:13], v[18:19]
	;; [unrolled: 1-line block ×3, first 2 shown]
	v_add_f64 v[14:15], v[14:15], v[54:55]
	v_fma_f64 v[22:23], v[48:49], s[6:7], v[22:23]
	s_waitcnt vmcnt(0)
	ds_write_b128 v45, v[12:15]
	ds_write_b128 v45, v[16:19] offset:160
	ds_write_b128 v45, v[20:23] offset:320
	v_add_f64 v[12:13], v[40:41], v[96:97]
	v_add_f64 v[16:17], v[42:43], -v[46:47]
	v_add_f64 v[20:21], v[40:41], -v[96:97]
	v_fma_f64 v[14:15], v[12:13], -0.5, v[8:9]
	v_add_f64 v[12:13], v[42:43], v[46:47]
	v_add_f64 v[8:9], v[8:9], v[40:41]
	v_fma_f64 v[18:19], v[12:13], -0.5, v[10:11]
	v_fma_f64 v[12:13], v[16:17], s[6:7], v[14:15]
	v_fma_f64 v[16:17], v[16:17], s[12:13], v[14:15]
	v_add_f64 v[10:11], v[10:11], v[42:43]
	v_add_f64 v[8:9], v[8:9], v[96:97]
	v_fma_f64 v[14:15], v[20:21], s[12:13], v[18:19]
	v_fma_f64 v[18:19], v[20:21], s[6:7], v[18:19]
	buffer_load_dword v20, off, s[40:43], 0 offset:752 ; 4-byte Folded Reload
	v_add_f64 v[10:11], v[10:11], v[46:47]
	s_waitcnt vmcnt(0)
	ds_write_b128 v20, v[8:11]
	ds_write_b128 v20, v[12:15] offset:160
	ds_write_b128 v20, v[16:19] offset:320
	v_add_f64 v[8:9], v[32:33], v[36:37]
	v_add_f64 v[12:13], v[34:35], -v[38:39]
	v_add_f64 v[16:17], v[32:33], -v[36:37]
	v_fma_f64 v[10:11], v[8:9], -0.5, v[4:5]
	v_add_f64 v[8:9], v[34:35], v[38:39]
	v_add_f64 v[4:5], v[4:5], v[32:33]
	v_fma_f64 v[14:15], v[8:9], -0.5, v[6:7]
	v_fma_f64 v[8:9], v[12:13], s[6:7], v[10:11]
	v_fma_f64 v[12:13], v[12:13], s[12:13], v[10:11]
	v_add_f64 v[6:7], v[6:7], v[34:35]
	v_add_f64 v[4:5], v[4:5], v[36:37]
	v_fma_f64 v[10:11], v[16:17], s[12:13], v[14:15]
	v_fma_f64 v[14:15], v[16:17], s[6:7], v[14:15]
	buffer_load_dword v16, off, s[40:43], 0 offset:700 ; 4-byte Folded Reload
	v_add_f64 v[6:7], v[6:7], v[38:39]
	;; [unrolled: 19-line block ×3, first 2 shown]
	s_waitcnt vmcnt(0)
	ds_write_b128 v12, v[0:3]
	ds_write_b128 v12, v[4:7] offset:160
	ds_write_b128 v12, v[8:11] offset:320
	s_waitcnt lgkmcnt(0)
	s_barrier
	ds_read_b128 v[0:3], v44 offset:12960
	buffer_load_dword v6, off, s[40:43], 0 offset:684 ; 4-byte Folded Reload
	buffer_load_dword v7, off, s[40:43], 0 offset:688 ; 4-byte Folded Reload
	buffer_load_dword v8, off, s[40:43], 0 offset:692 ; 4-byte Folded Reload
	buffer_load_dword v9, off, s[40:43], 0 offset:696 ; 4-byte Folded Reload
	s_waitcnt vmcnt(0) lgkmcnt(0)
	v_mul_f64 v[4:5], v[8:9], v[2:3]
	v_fma_f64 v[4:5], v[6:7], v[0:1], v[4:5]
	v_mul_f64 v[0:1], v[8:9], v[0:1]
	v_fma_f64 v[6:7], v[6:7], v[2:3], -v[0:1]
	ds_read_b128 v[0:3], v44 offset:25920
	buffer_load_dword v10, off, s[40:43], 0 offset:704 ; 4-byte Folded Reload
	buffer_load_dword v11, off, s[40:43], 0 offset:708 ; 4-byte Folded Reload
	buffer_load_dword v12, off, s[40:43], 0 offset:712 ; 4-byte Folded Reload
	buffer_load_dword v13, off, s[40:43], 0 offset:716 ; 4-byte Folded Reload
	s_waitcnt vmcnt(0) lgkmcnt(0)
	v_mul_f64 v[8:9], v[12:13], v[2:3]
	v_fma_f64 v[8:9], v[10:11], v[0:1], v[8:9]
	v_mul_f64 v[0:1], v[12:13], v[0:1]
	v_fma_f64 v[10:11], v[10:11], v[2:3], -v[0:1]
	;; [unrolled: 10-line block ×19, first 2 shown]
	ds_read_b128 v[0:3], v44 offset:37584
	buffer_load_dword v14, off, s[40:43], 0 offset:1336 ; 4-byte Folded Reload
	buffer_load_dword v15, off, s[40:43], 0 offset:1340 ; 4-byte Folded Reload
	buffer_load_dword v16, off, s[40:43], 0 offset:1344 ; 4-byte Folded Reload
	buffer_load_dword v17, off, s[40:43], 0 offset:1348 ; 4-byte Folded Reload
	s_waitcnt vmcnt(0) lgkmcnt(0)
	v_mul_f64 v[12:13], v[16:17], v[2:3]
	v_fma_f64 v[28:29], v[14:15], v[0:1], v[12:13]
	v_mul_f64 v[0:1], v[16:17], v[0:1]
	v_add_f64 v[12:13], v[4:5], v[8:9]
	v_fma_f64 v[30:31], v[14:15], v[2:3], -v[0:1]
	ds_read_b128 v[0:3], v44
	v_add_f64 v[14:15], v[6:7], v[10:11]
	s_waitcnt lgkmcnt(0)
	v_fma_f64 v[12:13], v[12:13], -0.5, v[0:1]
	v_add_f64 v[0:1], v[0:1], v[4:5]
	v_fma_f64 v[14:15], v[14:15], -0.5, v[2:3]
	v_add_f64 v[2:3], v[2:3], v[6:7]
	v_add_f64 v[6:7], v[6:7], -v[10:11]
	v_add_f64 v[98:99], v[0:1], v[8:9]
	v_add_f64 v[0:1], v[4:5], -v[8:9]
	v_add_f64 v[100:101], v[2:3], v[10:11]
	v_fma_f64 v[102:103], v[6:7], s[6:7], v[12:13]
	v_fma_f64 v[106:107], v[6:7], s[12:13], v[12:13]
	;; [unrolled: 1-line block ×4, first 2 shown]
	ds_read_b128 v[110:113], v44 offset:1296
	ds_read_b128 v[114:117], v44 offset:2592
	;; [unrolled: 1-line block ×9, first 2 shown]
	s_waitcnt lgkmcnt(0)
	s_barrier
	buffer_load_dword v45, off, s[40:43], 0 offset:1504 ; 4-byte Folded Reload
	s_waitcnt vmcnt(0)
	ds_write_b128 v45, v[98:101]
	ds_write_b128 v45, v[102:105] offset:480
	ds_write_b128 v45, v[106:109] offset:960
	buffer_load_dword v45, off, s[40:43], 0 offset:1432 ; 4-byte Folded Reload
	v_add_f64 v[98:99], v[88:89], v[92:93]
	v_add_f64 v[106:107], v[110:111], v[88:89]
	v_fma_f64 v[102:103], v[98:99], -0.5, v[110:111]
	v_add_f64 v[98:99], v[90:91], v[94:95]
	v_fma_f64 v[104:105], v[98:99], -0.5, v[112:113]
	v_add_f64 v[98:99], v[112:113], v[90:91]
	v_add_f64 v[90:91], v[90:91], -v[94:95]
	v_add_f64 v[100:101], v[98:99], v[94:95]
	v_add_f64 v[94:95], v[88:89], -v[92:93]
	v_add_f64 v[98:99], v[106:107], v[92:93]
	v_fma_f64 v[88:89], v[90:91], s[6:7], v[102:103]
	v_fma_f64 v[92:93], v[90:91], s[12:13], v[102:103]
	v_fma_f64 v[90:91], v[94:95], s[12:13], v[104:105]
	v_fma_f64 v[94:95], v[94:95], s[6:7], v[104:105]
	s_waitcnt vmcnt(0)
	ds_write_b128 v45, v[98:101]
	ds_write_b128 v45, v[88:91] offset:480
	ds_write_b128 v45, v[92:95] offset:960
	buffer_load_dword v45, off, s[40:43], 0 offset:1392 ; 4-byte Folded Reload
	v_add_f64 v[88:89], v[80:81], v[84:85]
	v_add_f64 v[94:95], v[114:115], v[80:81]
	v_fma_f64 v[90:91], v[88:89], -0.5, v[114:115]
	v_add_f64 v[88:89], v[82:83], v[86:87]
	v_fma_f64 v[92:93], v[88:89], -0.5, v[116:117]
	v_add_f64 v[88:89], v[116:117], v[82:83]
	v_add_f64 v[82:83], v[82:83], -v[86:87]
	v_add_f64 v[88:89], v[88:89], v[86:87]
	v_add_f64 v[86:87], v[94:95], v[84:85]
	v_add_f64 v[84:85], v[80:81], -v[84:85]
	v_fma_f64 v[80:81], v[82:83], s[6:7], v[90:91]
	v_fma_f64 v[90:91], v[82:83], s[12:13], v[90:91]
	;; [unrolled: 1-line block ×4, first 2 shown]
	s_waitcnt vmcnt(0)
	ds_write_b128 v45, v[86:89]
	ds_write_b128 v45, v[80:83] offset:480
	ds_write_b128 v45, v[90:93] offset:960
	buffer_load_dword v45, off, s[40:43], 0 offset:1352 ; 4-byte Folded Reload
	v_add_f64 v[80:81], v[72:73], v[76:77]
	v_add_f64 v[86:87], v[118:119], v[72:73]
	v_fma_f64 v[82:83], v[80:81], -0.5, v[118:119]
	v_add_f64 v[80:81], v[74:75], v[78:79]
	v_fma_f64 v[84:85], v[80:81], -0.5, v[120:121]
	v_add_f64 v[80:81], v[120:121], v[74:75]
	v_add_f64 v[74:75], v[74:75], -v[78:79]
	v_add_f64 v[80:81], v[80:81], v[78:79]
	v_add_f64 v[78:79], v[86:87], v[76:77]
	v_add_f64 v[76:77], v[72:73], -v[76:77]
	v_fma_f64 v[72:73], v[74:75], s[6:7], v[82:83]
	v_fma_f64 v[82:83], v[74:75], s[12:13], v[82:83]
	;; [unrolled: 1-line block ×4, first 2 shown]
	s_waitcnt vmcnt(0)
	ds_write_b128 v45, v[78:81]
	ds_write_b128 v45, v[72:75] offset:480
	ds_write_b128 v45, v[82:85] offset:960
	buffer_load_dword v45, off, s[40:43], 0 offset:1284 ; 4-byte Folded Reload
	v_add_f64 v[74:75], v[66:67], v[70:71]
	v_add_f64 v[72:73], v[64:65], v[68:69]
	v_fma_f64 v[74:75], v[74:75], -0.5, v[22:23]
	v_add_f64 v[22:23], v[22:23], v[66:67]
	v_fma_f64 v[72:73], v[72:73], -0.5, v[20:21]
	v_add_f64 v[20:21], v[20:21], v[64:65]
	v_add_f64 v[66:67], v[66:67], -v[70:71]
	v_add_f64 v[22:23], v[22:23], v[70:71]
	v_add_f64 v[70:71], v[64:65], -v[68:69]
	v_add_f64 v[20:21], v[20:21], v[68:69]
	v_fma_f64 v[64:65], v[66:67], s[6:7], v[72:73]
	v_fma_f64 v[68:69], v[66:67], s[12:13], v[72:73]
	;; [unrolled: 1-line block ×4, first 2 shown]
	s_waitcnt vmcnt(0)
	ds_write_b128 v45, v[20:23]
	ds_write_b128 v45, v[64:67] offset:480
	ds_write_b128 v45, v[68:71] offset:960
	buffer_load_dword v45, off, s[40:43], 0 offset:1216 ; 4-byte Folded Reload
	v_add_f64 v[20:21], v[56:57], v[60:61]
	v_fma_f64 v[22:23], v[20:21], -0.5, v[16:17]
	v_add_f64 v[20:21], v[58:59], v[62:63]
	v_add_f64 v[16:17], v[16:17], v[56:57]
	v_fma_f64 v[64:65], v[20:21], -0.5, v[18:19]
	v_add_f64 v[18:19], v[18:19], v[58:59]
	v_add_f64 v[58:59], v[58:59], -v[62:63]
	v_add_f64 v[16:17], v[16:17], v[60:61]
	v_add_f64 v[60:61], v[56:57], -v[60:61]
	v_add_f64 v[18:19], v[18:19], v[62:63]
	v_fma_f64 v[20:21], v[58:59], s[6:7], v[22:23]
	v_fma_f64 v[56:57], v[58:59], s[12:13], v[22:23]
	;; [unrolled: 1-line block ×4, first 2 shown]
	s_waitcnt vmcnt(0)
	ds_write_b128 v45, v[16:19]
	ds_write_b128 v45, v[20:23] offset:480
	ds_write_b128 v45, v[56:59] offset:960
	buffer_load_dword v45, off, s[40:43], 0 offset:1144 ; 4-byte Folded Reload
	v_add_f64 v[16:17], v[48:49], v[52:53]
	v_add_f64 v[20:21], v[50:51], -v[54:55]
	v_fma_f64 v[18:19], v[16:17], -0.5, v[12:13]
	v_add_f64 v[16:17], v[50:51], v[54:55]
	v_add_f64 v[12:13], v[12:13], v[48:49]
	v_add_f64 v[48:49], v[48:49], -v[52:53]
	v_fma_f64 v[22:23], v[16:17], -0.5, v[14:15]
	v_add_f64 v[14:15], v[14:15], v[50:51]
	v_add_f64 v[12:13], v[12:13], v[52:53]
	v_fma_f64 v[16:17], v[20:21], s[6:7], v[18:19]
	v_fma_f64 v[20:21], v[20:21], s[12:13], v[18:19]
	;; [unrolled: 1-line block ×3, first 2 shown]
	v_add_f64 v[14:15], v[14:15], v[54:55]
	v_fma_f64 v[22:23], v[48:49], s[6:7], v[22:23]
	s_waitcnt vmcnt(0)
	ds_write_b128 v45, v[12:15]
	ds_write_b128 v45, v[16:19] offset:480
	ds_write_b128 v45, v[20:23] offset:960
	v_add_f64 v[12:13], v[40:41], v[96:97]
	v_add_f64 v[16:17], v[42:43], -v[46:47]
	v_add_f64 v[20:21], v[40:41], -v[96:97]
	v_fma_f64 v[14:15], v[12:13], -0.5, v[8:9]
	v_add_f64 v[12:13], v[42:43], v[46:47]
	v_add_f64 v[8:9], v[8:9], v[40:41]
	v_fma_f64 v[18:19], v[12:13], -0.5, v[10:11]
	v_fma_f64 v[12:13], v[16:17], s[6:7], v[14:15]
	v_fma_f64 v[16:17], v[16:17], s[12:13], v[14:15]
	v_add_f64 v[10:11], v[10:11], v[42:43]
	v_add_f64 v[8:9], v[8:9], v[96:97]
	v_fma_f64 v[14:15], v[20:21], s[12:13], v[18:19]
	v_fma_f64 v[18:19], v[20:21], s[6:7], v[18:19]
	buffer_load_dword v20, off, s[40:43], 0 offset:1072 ; 4-byte Folded Reload
	v_add_f64 v[10:11], v[10:11], v[46:47]
	s_waitcnt vmcnt(0)
	ds_write_b128 v20, v[8:11]
	ds_write_b128 v20, v[12:15] offset:480
	ds_write_b128 v20, v[16:19] offset:960
	v_add_f64 v[8:9], v[32:33], v[36:37]
	v_add_f64 v[12:13], v[34:35], -v[38:39]
	v_add_f64 v[16:17], v[32:33], -v[36:37]
	v_fma_f64 v[10:11], v[8:9], -0.5, v[4:5]
	v_add_f64 v[8:9], v[34:35], v[38:39]
	v_add_f64 v[4:5], v[4:5], v[32:33]
	v_fma_f64 v[14:15], v[8:9], -0.5, v[6:7]
	v_fma_f64 v[8:9], v[12:13], s[6:7], v[10:11]
	v_fma_f64 v[12:13], v[12:13], s[12:13], v[10:11]
	v_add_f64 v[6:7], v[6:7], v[34:35]
	v_add_f64 v[4:5], v[4:5], v[36:37]
	v_fma_f64 v[10:11], v[16:17], s[12:13], v[14:15]
	v_fma_f64 v[14:15], v[16:17], s[6:7], v[14:15]
	buffer_load_dword v16, off, s[40:43], 0 offset:1032 ; 4-byte Folded Reload
	v_add_f64 v[6:7], v[6:7], v[38:39]
	;; [unrolled: 19-line block ×3, first 2 shown]
	s_waitcnt vmcnt(0)
	ds_write_b128 v12, v[0:3]
	ds_write_b128 v12, v[4:7] offset:480
	ds_write_b128 v12, v[8:11] offset:960
	s_waitcnt lgkmcnt(0)
	s_barrier
	ds_read_b128 v[0:3], v44 offset:12960
	buffer_load_dword v6, off, s[40:43], 0 offset:1000 ; 4-byte Folded Reload
	buffer_load_dword v7, off, s[40:43], 0 offset:1004 ; 4-byte Folded Reload
	buffer_load_dword v8, off, s[40:43], 0 offset:1008 ; 4-byte Folded Reload
	buffer_load_dword v9, off, s[40:43], 0 offset:1012 ; 4-byte Folded Reload
	s_waitcnt vmcnt(0) lgkmcnt(0)
	v_mul_f64 v[4:5], v[8:9], v[2:3]
	v_fma_f64 v[4:5], v[6:7], v[0:1], v[4:5]
	v_mul_f64 v[0:1], v[8:9], v[0:1]
	v_fma_f64 v[6:7], v[6:7], v[2:3], -v[0:1]
	ds_read_b128 v[0:3], v44 offset:25920
	buffer_load_dword v10, off, s[40:43], 0 offset:1016 ; 4-byte Folded Reload
	buffer_load_dword v11, off, s[40:43], 0 offset:1020 ; 4-byte Folded Reload
	buffer_load_dword v12, off, s[40:43], 0 offset:1024 ; 4-byte Folded Reload
	buffer_load_dword v13, off, s[40:43], 0 offset:1028 ; 4-byte Folded Reload
	s_waitcnt vmcnt(0) lgkmcnt(0)
	v_mul_f64 v[8:9], v[12:13], v[2:3]
	v_fma_f64 v[8:9], v[10:11], v[0:1], v[8:9]
	v_mul_f64 v[0:1], v[12:13], v[0:1]
	v_fma_f64 v[10:11], v[10:11], v[2:3], -v[0:1]
	;; [unrolled: 10-line block ×20, first 2 shown]
	v_add_f64 v[82:83], v[4:5], v[8:9]
	ds_read_b128 v[0:3], v44
	s_waitcnt lgkmcnt(0)
	v_fma_f64 v[88:89], v[82:83], -0.5, v[0:1]
	v_add_f64 v[82:83], v[6:7], v[10:11]
	v_add_f64 v[0:1], v[0:1], v[4:5]
	v_fma_f64 v[92:93], v[82:83], -0.5, v[2:3]
	v_add_f64 v[2:3], v[2:3], v[6:7]
	v_add_f64 v[6:7], v[6:7], -v[10:11]
	v_add_f64 v[82:83], v[0:1], v[8:9]
	v_add_f64 v[0:1], v[4:5], -v[8:9]
	;; [unrolled: 2-line block ×3, first 2 shown]
	v_add_f64 v[84:85], v[2:3], v[10:11]
	v_fma_f64 v[86:87], v[6:7], s[6:7], v[88:89]
	v_fma_f64 v[90:91], v[6:7], s[12:13], v[88:89]
	v_add_f64 v[6:7], v[14:15], v[94:95]
	v_fma_f64 v[88:89], v[0:1], s[12:13], v[92:93]
	v_fma_f64 v[92:93], v[0:1], s[6:7], v[92:93]
	ds_read_b128 v[0:3], v44 offset:1296
	s_waitcnt lgkmcnt(0)
	v_fma_f64 v[4:5], v[4:5], -0.5, v[0:1]
	v_fma_f64 v[6:7], v[6:7], -0.5, v[2:3]
	v_add_f64 v[2:3], v[2:3], v[14:15]
	v_add_f64 v[0:1], v[0:1], v[12:13]
	v_fma_f64 v[102:103], v[8:9], s[12:13], v[4:5]
	v_add_f64 v[96:97], v[2:3], v[94:95]
	v_add_f64 v[94:95], v[0:1], v[98:99]
	v_add_f64 v[0:1], v[12:13], -v[98:99]
	v_fma_f64 v[98:99], v[8:9], s[6:7], v[4:5]
	v_fma_f64 v[100:101], v[0:1], s[12:13], v[6:7]
	;; [unrolled: 1-line block ×3, first 2 shown]
	ds_read_b128 v[106:109], v44 offset:2592
	ds_read_b128 v[110:113], v44 offset:3888
	;; [unrolled: 1-line block ×8, first 2 shown]
	s_waitcnt lgkmcnt(0)
	s_barrier
	ds_write_b128 v44, v[82:85]
	ds_write_b128 v44, v[86:89] offset:1440
	ds_write_b128 v44, v[90:93] offset:2880
	buffer_load_dword v45, off, s[40:43], 0 offset:1688 ; 4-byte Folded Reload
	s_waitcnt vmcnt(0)
	ds_write_b128 v45, v[94:97]
	ds_write_b128 v45, v[98:101] offset:1440
	ds_write_b128 v45, v[102:105] offset:2880
	buffer_load_dword v45, off, s[40:43], 0 offset:1684 ; 4-byte Folded Reload
	v_add_f64 v[82:83], v[72:73], v[76:77]
	v_add_f64 v[90:91], v[106:107], v[72:73]
	v_fma_f64 v[86:87], v[82:83], -0.5, v[106:107]
	v_add_f64 v[82:83], v[74:75], v[78:79]
	v_fma_f64 v[88:89], v[82:83], -0.5, v[108:109]
	v_add_f64 v[82:83], v[108:109], v[74:75]
	v_add_f64 v[74:75], v[74:75], -v[78:79]
	v_add_f64 v[84:85], v[82:83], v[78:79]
	v_add_f64 v[78:79], v[72:73], -v[76:77]
	v_add_f64 v[82:83], v[90:91], v[76:77]
	v_fma_f64 v[72:73], v[74:75], s[6:7], v[86:87]
	v_fma_f64 v[76:77], v[74:75], s[12:13], v[86:87]
	v_fma_f64 v[74:75], v[78:79], s[12:13], v[88:89]
	v_fma_f64 v[78:79], v[78:79], s[6:7], v[88:89]
	s_waitcnt vmcnt(0)
	ds_write_b128 v45, v[82:85]
	ds_write_b128 v45, v[72:75] offset:1440
	ds_write_b128 v45, v[76:79] offset:2880
	buffer_load_dword v45, off, s[40:43], 0 offset:1680 ; 4-byte Folded Reload
	v_add_f64 v[72:73], v[64:65], v[68:69]
	v_add_f64 v[78:79], v[110:111], v[64:65]
	v_fma_f64 v[74:75], v[72:73], -0.5, v[110:111]
	v_add_f64 v[72:73], v[66:67], v[70:71]
	v_fma_f64 v[76:77], v[72:73], -0.5, v[112:113]
	v_add_f64 v[72:73], v[112:113], v[66:67]
	v_add_f64 v[66:67], v[66:67], -v[70:71]
	v_add_f64 v[72:73], v[72:73], v[70:71]
	v_add_f64 v[70:71], v[78:79], v[68:69]
	v_add_f64 v[68:69], v[64:65], -v[68:69]
	v_fma_f64 v[64:65], v[66:67], s[6:7], v[74:75]
	v_fma_f64 v[74:75], v[66:67], s[12:13], v[74:75]
	v_fma_f64 v[66:67], v[68:69], s[12:13], v[76:77]
	v_fma_f64 v[76:77], v[68:69], s[6:7], v[76:77]
	s_waitcnt vmcnt(0)
	ds_write_b128 v45, v[70:73]
	ds_write_b128 v45, v[64:67] offset:1440
	ds_write_b128 v45, v[74:77] offset:2880
	buffer_load_dword v45, off, s[40:43], 0 offset:1644 ; 4-byte Folded Reload
	v_add_f64 v[64:65], v[56:57], v[60:61]
	v_add_f64 v[70:71], v[114:115], v[56:57]
	v_fma_f64 v[66:67], v[64:65], -0.5, v[114:115]
	v_add_f64 v[64:65], v[58:59], v[62:63]
	v_fma_f64 v[68:69], v[64:65], -0.5, v[116:117]
	v_add_f64 v[64:65], v[116:117], v[58:59]
	v_add_f64 v[58:59], v[58:59], -v[62:63]
	v_add_f64 v[64:65], v[64:65], v[62:63]
	v_add_f64 v[62:63], v[70:71], v[60:61]
	v_add_f64 v[60:61], v[56:57], -v[60:61]
	;; [unrolled: 19-line block ×3, first 2 shown]
	v_fma_f64 v[48:49], v[50:51], s[6:7], v[58:59]
	v_fma_f64 v[58:59], v[50:51], s[12:13], v[58:59]
	;; [unrolled: 1-line block ×4, first 2 shown]
	s_waitcnt vmcnt(0)
	ds_write_b128 v45, v[54:57]
	ds_write_b128 v45, v[48:51] offset:1440
	ds_write_b128 v45, v[58:61] offset:2880
	v_add_f64 v[48:49], v[40:41], v[80:81]
	v_add_f64 v[50:51], v[42:43], v[46:47]
	v_add_f64 v[52:53], v[40:41], -v[80:81]
	v_fma_f64 v[48:49], v[48:49], -0.5, v[12:13]
	v_fma_f64 v[50:51], v[50:51], -0.5, v[14:15]
	v_add_f64 v[14:15], v[14:15], v[42:43]
	v_add_f64 v[42:43], v[42:43], -v[46:47]
	v_add_f64 v[12:13], v[12:13], v[40:41]
	v_add_f64 v[14:15], v[14:15], v[46:47]
	v_fma_f64 v[40:41], v[42:43], s[6:7], v[48:49]
	v_fma_f64 v[45:46], v[42:43], s[12:13], v[48:49]
	buffer_load_dword v49, off, s[40:43], 0 offset:1540 ; 4-byte Folded Reload
	v_add_f64 v[12:13], v[12:13], v[80:81]
	v_fma_f64 v[42:43], v[52:53], s[12:13], v[50:51]
	v_fma_f64 v[47:48], v[52:53], s[6:7], v[50:51]
	s_waitcnt vmcnt(0)
	ds_write_b128 v49, v[12:15]
	ds_write_b128 v49, v[40:43] offset:1440
	ds_write_b128 v49, v[45:48] offset:2880
	v_add_f64 v[12:13], v[32:33], v[36:37]
	v_fma_f64 v[14:15], v[12:13], -0.5, v[8:9]
	v_add_f64 v[12:13], v[34:35], v[38:39]
	v_add_f64 v[8:9], v[8:9], v[32:33]
	v_fma_f64 v[40:41], v[12:13], -0.5, v[10:11]
	v_add_f64 v[10:11], v[10:11], v[34:35]
	v_add_f64 v[34:35], v[34:35], -v[38:39]
	v_add_f64 v[8:9], v[8:9], v[36:37]
	v_add_f64 v[36:37], v[32:33], -v[36:37]
	v_add_f64 v[10:11], v[10:11], v[38:39]
	v_fma_f64 v[12:13], v[34:35], s[6:7], v[14:15]
	v_fma_f64 v[32:33], v[34:35], s[12:13], v[14:15]
	;; [unrolled: 1-line block ×4, first 2 shown]
	buffer_load_dword v36, off, s[40:43], 0 offset:1500 ; 4-byte Folded Reload
	s_waitcnt vmcnt(0)
	ds_write_b128 v36, v[8:11]
	ds_write_b128 v36, v[12:15] offset:1440
	ds_write_b128 v36, v[32:35] offset:2880
	v_add_f64 v[8:9], v[24:25], v[28:29]
	v_add_f64 v[12:13], v[26:27], -v[30:31]
	v_fma_f64 v[10:11], v[8:9], -0.5, v[4:5]
	v_add_f64 v[8:9], v[26:27], v[30:31]
	v_add_f64 v[4:5], v[4:5], v[24:25]
	v_add_f64 v[24:25], v[24:25], -v[28:29]
	v_fma_f64 v[14:15], v[8:9], -0.5, v[6:7]
	v_fma_f64 v[8:9], v[12:13], s[6:7], v[10:11]
	v_fma_f64 v[12:13], v[12:13], s[12:13], v[10:11]
	v_add_f64 v[6:7], v[6:7], v[26:27]
	v_add_f64 v[4:5], v[4:5], v[28:29]
	v_fma_f64 v[10:11], v[24:25], s[12:13], v[14:15]
	v_fma_f64 v[14:15], v[24:25], s[6:7], v[14:15]
	buffer_load_dword v24, off, s[40:43], 0 offset:1396 ; 4-byte Folded Reload
	v_add_f64 v[6:7], v[6:7], v[30:31]
	s_waitcnt vmcnt(0)
	ds_write_b128 v24, v[4:7]
	ds_write_b128 v24, v[8:11] offset:1440
	ds_write_b128 v24, v[12:15] offset:2880
	v_add_f64 v[4:5], v[16:17], v[20:21]
	v_add_f64 v[8:9], v[18:19], -v[22:23]
	v_add_f64 v[12:13], v[16:17], -v[20:21]
	v_fma_f64 v[6:7], v[4:5], -0.5, v[0:1]
	v_add_f64 v[4:5], v[18:19], v[22:23]
	v_add_f64 v[0:1], v[0:1], v[16:17]
	v_fma_f64 v[10:11], v[4:5], -0.5, v[2:3]
	v_fma_f64 v[4:5], v[8:9], s[6:7], v[6:7]
	v_fma_f64 v[8:9], v[8:9], s[12:13], v[6:7]
	v_add_f64 v[2:3], v[2:3], v[18:19]
	v_add_f64 v[0:1], v[0:1], v[20:21]
	v_fma_f64 v[6:7], v[12:13], s[12:13], v[10:11]
	v_fma_f64 v[10:11], v[12:13], s[6:7], v[10:11]
	buffer_load_dword v12, off, s[40:43], 0 offset:1356 ; 4-byte Folded Reload
	v_add_f64 v[2:3], v[2:3], v[22:23]
	s_waitcnt vmcnt(0)
	ds_write_b128 v12, v[0:3] offset:34560
	ds_write_b128 v12, v[4:7] offset:36000
	;; [unrolled: 1-line block ×3, first 2 shown]
	s_waitcnt lgkmcnt(0)
	s_barrier
	ds_read_b128 v[0:3], v44 offset:12960
	buffer_load_dword v6, off, s[40:43], 0 offset:1400 ; 4-byte Folded Reload
	buffer_load_dword v7, off, s[40:43], 0 offset:1404 ; 4-byte Folded Reload
	;; [unrolled: 1-line block ×4, first 2 shown]
	s_waitcnt vmcnt(0) lgkmcnt(0)
	v_mul_f64 v[4:5], v[8:9], v[2:3]
	v_fma_f64 v[58:59], v[6:7], v[0:1], v[4:5]
	v_mul_f64 v[0:1], v[8:9], v[0:1]
	v_fma_f64 v[54:55], v[6:7], v[2:3], -v[0:1]
	ds_read_b128 v[0:3], v44 offset:25920
	buffer_load_dword v6, off, s[40:43], 0 offset:1416 ; 4-byte Folded Reload
	buffer_load_dword v7, off, s[40:43], 0 offset:1420 ; 4-byte Folded Reload
	;; [unrolled: 1-line block ×4, first 2 shown]
	s_waitcnt vmcnt(0) lgkmcnt(0)
	v_mul_f64 v[4:5], v[8:9], v[2:3]
	v_fma_f64 v[60:61], v[6:7], v[0:1], v[4:5]
	v_mul_f64 v[0:1], v[8:9], v[0:1]
	v_add_f64 v[62:63], v[58:59], v[60:61]
	v_fma_f64 v[56:57], v[6:7], v[2:3], -v[0:1]
	ds_read_b128 v[0:3], v44 offset:14256
	buffer_load_dword v6, off, s[40:43], 0 offset:1468 ; 4-byte Folded Reload
	buffer_load_dword v7, off, s[40:43], 0 offset:1472 ; 4-byte Folded Reload
	buffer_load_dword v8, off, s[40:43], 0 offset:1476 ; 4-byte Folded Reload
	buffer_load_dword v9, off, s[40:43], 0 offset:1480 ; 4-byte Folded Reload
	v_add_f64 v[64:65], v[54:55], v[56:57]
	v_add_f64 v[74:75], v[54:55], -v[56:57]
	s_waitcnt vmcnt(0) lgkmcnt(0)
	v_mul_f64 v[4:5], v[8:9], v[2:3]
	v_fma_f64 v[70:71], v[6:7], v[0:1], v[4:5]
	v_mul_f64 v[0:1], v[8:9], v[0:1]
	v_fma_f64 v[66:67], v[6:7], v[2:3], -v[0:1]
	ds_read_b128 v[0:3], v44 offset:27216
	buffer_load_dword v6, off, s[40:43], 0 offset:1484 ; 4-byte Folded Reload
	buffer_load_dword v7, off, s[40:43], 0 offset:1488 ; 4-byte Folded Reload
	buffer_load_dword v8, off, s[40:43], 0 offset:1492 ; 4-byte Folded Reload
	buffer_load_dword v9, off, s[40:43], 0 offset:1496 ; 4-byte Folded Reload
	s_waitcnt vmcnt(0) lgkmcnt(0)
	v_mul_f64 v[4:5], v[8:9], v[2:3]
	v_fma_f64 v[72:73], v[6:7], v[0:1], v[4:5]
	v_mul_f64 v[0:1], v[8:9], v[0:1]
	v_fma_f64 v[68:69], v[6:7], v[2:3], -v[0:1]
	ds_read_b128 v[0:3], v44 offset:15552
	buffer_load_dword v6, off, s[40:43], 0 offset:1544 ; 4-byte Folded Reload
	buffer_load_dword v7, off, s[40:43], 0 offset:1548 ; 4-byte Folded Reload
	buffer_load_dword v8, off, s[40:43], 0 offset:1552 ; 4-byte Folded Reload
	buffer_load_dword v9, off, s[40:43], 0 offset:1556 ; 4-byte Folded Reload
	v_add_f64 v[76:77], v[66:67], v[68:69]
	v_add_f64 v[86:87], v[66:67], -v[68:69]
	s_waitcnt vmcnt(0) lgkmcnt(0)
	v_mul_f64 v[4:5], v[8:9], v[2:3]
	v_fma_f64 v[82:83], v[6:7], v[0:1], v[4:5]
	v_mul_f64 v[0:1], v[8:9], v[0:1]
	v_fma_f64 v[78:79], v[6:7], v[2:3], -v[0:1]
	ds_read_b128 v[0:3], v44 offset:28512
	buffer_load_dword v6, off, s[40:43], 0 offset:1560 ; 4-byte Folded Reload
	buffer_load_dword v7, off, s[40:43], 0 offset:1564 ; 4-byte Folded Reload
	buffer_load_dword v8, off, s[40:43], 0 offset:1568 ; 4-byte Folded Reload
	buffer_load_dword v9, off, s[40:43], 0 offset:1572 ; 4-byte Folded Reload
	s_waitcnt vmcnt(0) lgkmcnt(0)
	v_mul_f64 v[4:5], v[8:9], v[2:3]
	v_fma_f64 v[84:85], v[6:7], v[0:1], v[4:5]
	v_mul_f64 v[0:1], v[8:9], v[0:1]
	;; [unrolled: 22-line block ×4, first 2 shown]
	v_fma_f64 v[50:51], v[6:7], v[2:3], -v[0:1]
	ds_read_b128 v[0:3], v44 offset:19440
	buffer_load_dword v6, off, s[40:43], 0 offset:1724 ; 4-byte Folded Reload
	buffer_load_dword v7, off, s[40:43], 0 offset:1728 ; 4-byte Folded Reload
	;; [unrolled: 1-line block ×4, first 2 shown]
	s_waitcnt vmcnt(0) lgkmcnt(0)
	v_mul_f64 v[4:5], v[8:9], v[2:3]
	v_fma_f64 v[30:31], v[6:7], v[0:1], v[4:5]
	v_mul_f64 v[0:1], v[8:9], v[0:1]
	v_fma_f64 v[36:37], v[6:7], v[2:3], -v[0:1]
	ds_read_b128 v[0:3], v44 offset:32400
	s_waitcnt lgkmcnt(0)
	v_mul_f64 v[4:5], v[249:250], v[2:3]
	v_fma_f64 v[38:39], v[247:248], v[0:1], v[4:5]
	v_mul_f64 v[0:1], v[249:250], v[0:1]
	v_fma_f64 v[46:47], v[247:248], v[2:3], -v[0:1]
	ds_read_b128 v[0:3], v44 offset:20736
	s_waitcnt lgkmcnt(0)
	;; [unrolled: 6-line block ×9, first 2 shown]
	v_mul_f64 v[12:13], v[169:170], v[2:3]
	v_fma_f64 v[12:13], v[167:168], v[0:1], v[12:13]
	v_mul_f64 v[0:1], v[169:170], v[0:1]
	v_fma_f64 v[22:23], v[167:168], v[2:3], -v[0:1]
	ds_read_b128 v[0:3], v44
	s_waitcnt lgkmcnt(0)
	v_fma_f64 v[62:63], v[62:63], -0.5, v[0:1]
	v_add_f64 v[0:1], v[0:1], v[58:59]
	v_fma_f64 v[64:65], v[64:65], -0.5, v[2:3]
	v_add_f64 v[2:3], v[2:3], v[54:55]
	v_add_f64 v[54:55], v[0:1], v[60:61]
	v_add_f64 v[0:1], v[58:59], -v[60:61]
	v_fma_f64 v[58:59], v[74:75], s[6:7], v[62:63]
	v_fma_f64 v[62:63], v[74:75], s[12:13], v[62:63]
	v_add_f64 v[74:75], v[70:71], v[72:73]
	v_add_f64 v[56:57], v[2:3], v[56:57]
	v_fma_f64 v[60:61], v[0:1], s[12:13], v[64:65]
	v_fma_f64 v[64:65], v[0:1], s[6:7], v[64:65]
	ds_read_b128 v[0:3], v44 offset:1296
	s_waitcnt lgkmcnt(0)
	v_fma_f64 v[74:75], v[74:75], -0.5, v[0:1]
	v_add_f64 v[0:1], v[0:1], v[70:71]
	v_fma_f64 v[76:77], v[76:77], -0.5, v[2:3]
	v_add_f64 v[2:3], v[2:3], v[66:67]
	v_add_f64 v[66:67], v[0:1], v[72:73]
	v_add_f64 v[0:1], v[70:71], -v[72:73]
	v_fma_f64 v[70:71], v[86:87], s[6:7], v[74:75]
	v_fma_f64 v[74:75], v[86:87], s[12:13], v[74:75]
	v_add_f64 v[86:87], v[82:83], v[84:85]
	v_add_f64 v[68:69], v[2:3], v[68:69]
	v_fma_f64 v[72:73], v[0:1], s[12:13], v[76:77]
	v_fma_f64 v[76:77], v[0:1], s[6:7], v[76:77]
	ds_read_b128 v[0:3], v44 offset:2592
	;; [unrolled: 14-line block ×3, first 2 shown]
	s_waitcnt lgkmcnt(0)
	v_fma_f64 v[98:99], v[98:99], -0.5, v[0:1]
	v_add_f64 v[0:1], v[0:1], v[94:95]
	v_fma_f64 v[100:101], v[100:101], -0.5, v[2:3]
	v_add_f64 v[2:3], v[2:3], v[90:91]
	v_add_f64 v[90:91], v[0:1], v[96:97]
	v_add_f64 v[0:1], v[94:95], -v[96:97]
	v_add_f64 v[92:93], v[2:3], v[92:93]
	v_fma_f64 v[94:95], v[102:103], s[6:7], v[98:99]
	v_fma_f64 v[98:99], v[102:103], s[12:13], v[98:99]
	;; [unrolled: 1-line block ×4, first 2 shown]
	ds_read_b128 v[102:105], v44 offset:5184
	ds_read_b128 v[106:109], v44 offset:6480
	;; [unrolled: 1-line block ×6, first 2 shown]
	s_waitcnt lgkmcnt(0)
	s_barrier
	ds_write_b128 v44, v[54:57]
	ds_write_b128 v44, v[58:61] offset:4320
	ds_write_b128 v44, v[62:65] offset:8640
	;; [unrolled: 1-line block ×8, first 2 shown]
	buffer_load_dword v45, off, s[40:43], 0 offset:1756 ; 4-byte Folded Reload
	v_add_f64 v[54:55], v[32:33], v[52:53]
	v_add_f64 v[62:63], v[102:103], v[32:33]
	v_add_f64 v[32:33], v[32:33], -v[52:53]
	v_add_f64 v[66:67], v[106:107], v[30:31]
	s_waitcnt vmcnt(0)
	ds_write_b128 v45, v[90:93]
	ds_write_b128 v45, v[94:97] offset:4320
	ds_write_b128 v45, v[98:101] offset:8640
	v_fma_f64 v[58:59], v[54:55], -0.5, v[102:103]
	v_add_f64 v[54:55], v[42:43], v[50:51]
	v_fma_f64 v[60:61], v[54:55], -0.5, v[104:105]
	v_add_f64 v[54:55], v[104:105], v[42:43]
	v_add_f64 v[42:43], v[42:43], -v[50:51]
	v_add_f64 v[56:57], v[54:55], v[50:51]
	v_add_f64 v[54:55], v[62:63], v[52:53]
	v_fma_f64 v[50:51], v[42:43], s[6:7], v[58:59]
	v_fma_f64 v[58:59], v[42:43], s[12:13], v[58:59]
	;; [unrolled: 1-line block ×4, first 2 shown]
	v_add_f64 v[32:33], v[30:31], v[38:39]
	v_add_f64 v[42:43], v[36:37], v[46:47]
	;; [unrolled: 1-line block ×3, first 2 shown]
	v_add_f64 v[36:37], v[36:37], -v[46:47]
	v_fma_f64 v[32:33], v[32:33], -0.5, v[106:107]
	v_fma_f64 v[42:43], v[42:43], -0.5, v[108:109]
	v_add_f64 v[64:65], v[62:63], v[46:47]
	v_add_f64 v[62:63], v[66:67], v[38:39]
	v_add_f64 v[38:39], v[30:31], -v[38:39]
	v_add_f64 v[45:46], v[34:35], v[48:49]
	v_add_f64 v[66:67], v[110:111], v[28:29]
	v_fma_f64 v[30:31], v[36:37], s[6:7], v[32:33]
	v_fma_f64 v[36:37], v[36:37], s[12:13], v[32:33]
	;; [unrolled: 1-line block ×4, first 2 shown]
	v_add_f64 v[42:43], v[28:29], v[40:41]
	v_fma_f64 v[68:69], v[45:46], -0.5, v[112:113]
	v_add_f64 v[45:46], v[112:113], v[34:35]
	v_add_f64 v[34:35], v[34:35], -v[48:49]
	v_add_f64 v[28:29], v[28:29], -v[40:41]
	ds_write_b128 v44, v[54:57] offset:13824
	ds_write_b128 v44, v[50:53] offset:18144
	;; [unrolled: 1-line block ×6, first 2 shown]
	v_add_f64 v[36:37], v[114:115], v[8:9]
	v_add_f64 v[38:39], v[16:17], -v[24:25]
	v_fma_f64 v[42:43], v[42:43], -0.5, v[110:111]
	v_add_f64 v[47:48], v[45:46], v[48:49]
	v_add_f64 v[45:46], v[66:67], v[40:41]
	v_fma_f64 v[40:41], v[34:35], s[6:7], v[42:43]
	v_fma_f64 v[66:67], v[34:35], s[12:13], v[42:43]
	;; [unrolled: 1-line block ×4, first 2 shown]
	buffer_load_dword v28, off, s[40:43], 0 offset:1752 ; 4-byte Folded Reload
	s_waitcnt vmcnt(0)
	ds_write_b128 v28, v[45:48]
	ds_write_b128 v28, v[40:43] offset:4320
	ds_write_b128 v28, v[66:69] offset:8640
	v_add_f64 v[28:29], v[8:9], v[18:19]
	v_add_f64 v[8:9], v[8:9], -v[18:19]
	v_fma_f64 v[32:33], v[28:29], -0.5, v[114:115]
	v_add_f64 v[28:29], v[16:17], v[24:25]
	v_fma_f64 v[34:35], v[28:29], -0.5, v[116:117]
	v_add_f64 v[28:29], v[116:117], v[16:17]
	v_fma_f64 v[16:17], v[38:39], s[6:7], v[32:33]
	v_fma_f64 v[32:33], v[38:39], s[12:13], v[32:33]
	v_add_f64 v[30:31], v[28:29], v[24:25]
	v_add_f64 v[24:25], v[14:15], v[26:27]
	;; [unrolled: 1-line block ×3, first 2 shown]
	v_fma_f64 v[18:19], v[8:9], s[12:13], v[34:35]
	v_fma_f64 v[34:35], v[8:9], s[6:7], v[34:35]
	v_add_f64 v[8:9], v[6:7], v[20:21]
	v_add_f64 v[36:37], v[118:119], v[6:7]
	v_fma_f64 v[38:39], v[24:25], -0.5, v[120:121]
	v_add_f64 v[24:25], v[120:121], v[14:15]
	v_add_f64 v[14:15], v[14:15], -v[26:27]
	v_fma_f64 v[8:9], v[8:9], -0.5, v[118:119]
	v_add_f64 v[26:27], v[24:25], v[26:27]
	v_add_f64 v[24:25], v[36:37], v[20:21]
	v_add_f64 v[20:21], v[6:7], -v[20:21]
	v_fma_f64 v[6:7], v[14:15], s[6:7], v[8:9]
	v_fma_f64 v[36:37], v[14:15], s[12:13], v[8:9]
	v_add_f64 v[14:15], v[4:5], v[12:13]
	v_fma_f64 v[8:9], v[20:21], s[12:13], v[38:39]
	v_fma_f64 v[38:39], v[20:21], s[6:7], v[38:39]
	v_add_f64 v[20:21], v[10:11], v[22:23]
	v_fma_f64 v[14:15], v[14:15], -0.5, v[0:1]
	v_add_f64 v[0:1], v[0:1], v[4:5]
	v_add_f64 v[4:5], v[4:5], -v[12:13]
	v_fma_f64 v[40:41], v[20:21], -0.5, v[2:3]
	v_add_f64 v[2:3], v[2:3], v[10:11]
	v_add_f64 v[20:21], v[10:11], -v[22:23]
	v_add_f64 v[0:1], v[0:1], v[12:13]
	v_fma_f64 v[12:13], v[4:5], s[12:13], v[40:41]
	v_add_f64 v[2:3], v[2:3], v[22:23]
	v_fma_f64 v[22:23], v[4:5], s[6:7], v[40:41]
	buffer_load_dword v4, off, s[40:43], 0 offset:1740 ; 4-byte Folded Reload
	s_waitcnt vmcnt(0)
	ds_write_b128 v4, v[28:31] offset:25920
	ds_write_b128 v4, v[16:19] offset:30240
	ds_write_b128 v4, v[32:35] offset:34560
	buffer_load_dword v4, off, s[40:43], 0 offset:1744 ; 4-byte Folded Reload
	s_waitcnt vmcnt(0)
	ds_write_b128 v4, v[24:27] offset:25920
	ds_write_b128 v4, v[6:9] offset:30240
	;; [unrolled: 1-line block ×3, first 2 shown]
	buffer_load_dword v4, off, s[40:43], 0 offset:1748 ; 4-byte Folded Reload
	v_fma_f64 v[10:11], v[20:21], s[6:7], v[14:15]
	v_fma_f64 v[20:21], v[20:21], s[12:13], v[14:15]
	s_waitcnt vmcnt(0)
	ds_write_b128 v4, v[0:3] offset:25920
	ds_write_b128 v4, v[10:13] offset:30240
	;; [unrolled: 1-line block ×3, first 2 shown]
	s_waitcnt lgkmcnt(0)
	s_barrier
	ds_read_b128 v[4:7], v44 offset:12960
	ds_read_b128 v[0:3], v44
	ds_read_b128 v[8:11], v44 offset:25920
	ds_read_b128 v[12:15], v44 offset:1296
	;; [unrolled: 1-line block ×6, first 2 shown]
	s_waitcnt lgkmcnt(7)
	v_mul_f64 v[24:25], v[241:242], v[6:7]
	v_mul_f64 v[26:27], v[241:242], v[4:5]
	s_waitcnt lgkmcnt(5)
	v_mul_f64 v[28:29], v[233:234], v[10:11]
	v_mul_f64 v[30:31], v[233:234], v[8:9]
	ds_read_b128 v[49:52], v44 offset:3888
	ds_read_b128 v[53:56], v44 offset:5184
	;; [unrolled: 1-line block ×3, first 2 shown]
	v_fma_f64 v[61:62], v[239:240], v[4:5], v[24:25]
	v_fma_f64 v[63:64], v[239:240], v[6:7], -v[26:27]
	s_waitcnt lgkmcnt(6)
	v_mul_f64 v[24:25], v[225:226], v[18:19]
	v_mul_f64 v[26:27], v[225:226], v[16:17]
	v_fma_f64 v[65:66], v[231:232], v[8:9], v[28:29]
	s_waitcnt lgkmcnt(5)
	v_mul_f64 v[28:29], v[221:222], v[22:23]
	ds_read_b128 v[4:7], v44 offset:15552
	v_fma_f64 v[67:68], v[231:232], v[10:11], -v[30:31]
	v_mul_f64 v[30:31], v[221:222], v[20:21]
	ds_read_b128 v[8:11], v44 offset:28512
	v_fma_f64 v[69:70], v[223:224], v[16:17], v[24:25]
	v_fma_f64 v[71:72], v[223:224], v[18:19], -v[26:27]
	s_waitcnt lgkmcnt(1)
	v_mul_f64 v[24:25], v[217:218], v[6:7]
	v_mul_f64 v[26:27], v[217:218], v[4:5]
	v_fma_f64 v[73:74], v[219:220], v[20:21], v[28:29]
	s_waitcnt lgkmcnt(0)
	v_mul_f64 v[28:29], v[209:210], v[10:11]
	ds_read_b128 v[16:19], v44 offset:16848
	v_fma_f64 v[75:76], v[219:220], v[22:23], -v[30:31]
	v_mul_f64 v[30:31], v[209:210], v[8:9]
	ds_read_b128 v[20:23], v44 offset:29808
	;; [unrolled: 12-line block ×6, first 2 shown]
	v_fma_f64 v[32:33], v[163:164], v[4:5], v[24:25]
	v_fma_f64 v[109:110], v[163:164], v[6:7], -v[26:27]
	s_waitcnt lgkmcnt(1)
	v_mul_f64 v[24:25], v[156:157], v[18:19]
	v_mul_f64 v[26:27], v[156:157], v[16:17]
	v_fma_f64 v[36:37], v[158:159], v[8:9], v[28:29]
	s_waitcnt lgkmcnt(0)
	v_mul_f64 v[28:29], v[152:153], v[22:23]
	ds_read_b128 v[4:7], v44 offset:23328
	v_fma_f64 v[38:39], v[158:159], v[10:11], -v[30:31]
	ds_read_b128 v[8:11], v44 offset:36288
	v_mul_f64 v[30:31], v[152:153], v[20:21]
	v_fma_f64 v[34:35], v[154:155], v[16:17], v[24:25]
	v_fma_f64 v[111:112], v[154:155], v[18:19], -v[26:27]
	s_waitcnt lgkmcnt(1)
	v_mul_f64 v[24:25], v[148:149], v[6:7]
	v_mul_f64 v[26:27], v[148:149], v[4:5]
	v_fma_f64 v[113:114], v[150:151], v[20:21], v[28:29]
	s_waitcnt lgkmcnt(0)
	v_mul_f64 v[20:21], v[136:137], v[10:11]
	ds_read_b128 v[16:19], v44 offset:24624
	v_fma_f64 v[115:116], v[150:151], v[22:23], -v[30:31]
	v_mul_f64 v[28:29], v[136:137], v[8:9]
	v_add_f64 v[117:118], v[63:64], -v[67:68]
	v_fma_f64 v[22:23], v[146:147], v[4:5], v[24:25]
	v_fma_f64 v[24:25], v[146:147], v[6:7], -v[26:27]
	s_waitcnt lgkmcnt(0)
	v_mul_f64 v[6:7], v[140:141], v[16:17]
	v_fma_f64 v[26:27], v[134:135], v[8:9], v[20:21]
	v_mul_f64 v[8:9], v[144:145], v[47:48]
	v_mul_f64 v[4:5], v[140:141], v[18:19]
	v_fma_f64 v[28:29], v[134:135], v[10:11], -v[28:29]
	v_add_f64 v[10:11], v[61:62], v[65:66]
	v_add_f64 v[123:124], v[111:112], -v[115:116]
	v_add_f64 v[125:126], v[34:35], -v[113:114]
	v_fma_f64 v[20:21], v[138:139], v[18:19], -v[6:7]
	v_add_f64 v[6:7], v[0:1], v[61:62]
	v_fma_f64 v[18:19], v[142:143], v[45:46], v[8:9]
	v_add_f64 v[8:9], v[63:64], v[67:68]
	v_fma_f64 v[16:17], v[138:139], v[16:17], v[4:5]
	v_mul_f64 v[4:5], v[144:145], v[45:46]
	v_fma_f64 v[10:11], v[10:11], -0.5, v[0:1]
	v_add_f64 v[63:64], v[2:3], v[63:64]
	v_add_f64 v[61:62], v[61:62], -v[65:66]
	v_add_f64 v[0:1], v[6:7], v[65:66]
	v_add_f64 v[6:7], v[69:70], v[73:74]
	v_fma_f64 v[119:120], v[8:9], -0.5, v[2:3]
	v_add_f64 v[65:66], v[12:13], v[69:70]
	v_fma_f64 v[30:31], v[142:143], v[47:48], -v[4:5]
	v_fma_f64 v[8:9], v[117:118], s[6:7], v[10:11]
	v_fma_f64 v[4:5], v[117:118], s[12:13], v[10:11]
	v_add_f64 v[2:3], v[63:64], v[67:68]
	v_add_f64 v[63:64], v[71:72], v[75:76]
	v_fma_f64 v[67:68], v[6:7], -0.5, v[12:13]
	v_add_f64 v[117:118], v[71:72], -v[75:76]
	v_fma_f64 v[10:11], v[61:62], s[12:13], v[119:120]
	v_fma_f64 v[6:7], v[61:62], s[6:7], v[119:120]
	v_add_f64 v[71:72], v[14:15], v[71:72]
	v_add_f64 v[119:120], v[77:78], v[81:82]
	;; [unrolled: 1-line block ×3, first 2 shown]
	v_fma_f64 v[121:122], v[63:64], -0.5, v[14:15]
	v_add_f64 v[69:70], v[69:70], -v[73:74]
	v_fma_f64 v[61:62], v[117:118], s[6:7], v[67:68]
	v_fma_f64 v[65:66], v[117:118], s[12:13], v[67:68]
	v_add_f64 v[73:74], v[40:41], v[77:78]
	v_add_f64 v[14:15], v[71:72], v[75:76]
	;; [unrolled: 1-line block ×3, first 2 shown]
	v_fma_f64 v[75:76], v[119:120], -0.5, v[40:41]
	v_add_f64 v[117:118], v[79:80], -v[83:84]
	v_add_f64 v[79:80], v[42:43], v[79:80]
	v_add_f64 v[119:120], v[85:86], v[89:90]
	v_fma_f64 v[63:64], v[69:70], s[12:13], v[121:122]
	v_fma_f64 v[67:68], v[69:70], s[6:7], v[121:122]
	v_add_f64 v[40:41], v[73:74], v[81:82]
	v_fma_f64 v[121:122], v[71:72], -0.5, v[42:43]
	v_add_f64 v[77:78], v[77:78], -v[81:82]
	v_fma_f64 v[69:70], v[117:118], s[6:7], v[75:76]
	v_fma_f64 v[73:74], v[117:118], s[12:13], v[75:76]
	v_add_f64 v[81:82], v[49:50], v[85:86]
	v_add_f64 v[42:43], v[79:80], v[83:84]
	;; [unrolled: 1-line block ×3, first 2 shown]
	v_fma_f64 v[83:84], v[119:120], -0.5, v[49:50]
	v_add_f64 v[117:118], v[87:88], -v[91:92]
	v_add_f64 v[87:88], v[51:52], v[87:88]
	v_add_f64 v[119:120], v[93:94], v[97:98]
	v_fma_f64 v[71:72], v[77:78], s[12:13], v[121:122]
	v_fma_f64 v[75:76], v[77:78], s[6:7], v[121:122]
	v_add_f64 v[49:50], v[81:82], v[89:90]
	v_fma_f64 v[121:122], v[79:80], -0.5, v[51:52]
	v_add_f64 v[85:86], v[85:86], -v[89:90]
	v_fma_f64 v[77:78], v[117:118], s[6:7], v[83:84]
	v_fma_f64 v[81:82], v[117:118], s[12:13], v[83:84]
	v_add_f64 v[51:52], v[87:88], v[91:92]
	v_add_f64 v[87:88], v[53:54], v[93:94]
	;; [unrolled: 1-line block ×3, first 2 shown]
	v_add_f64 v[117:118], v[95:96], -v[99:100]
	v_add_f64 v[95:96], v[55:56], v[95:96]
	v_fma_f64 v[91:92], v[119:120], -0.5, v[53:54]
	v_add_f64 v[119:120], v[101:102], v[105:106]
	v_add_f64 v[93:94], v[93:94], -v[97:98]
	v_fma_f64 v[79:80], v[85:86], s[12:13], v[121:122]
	v_add_f64 v[53:54], v[87:88], v[97:98]
	v_fma_f64 v[89:90], v[89:90], -0.5, v[55:56]
	v_add_f64 v[97:98], v[103:104], v[107:108]
	v_add_f64 v[55:56], v[95:96], v[99:100]
	v_add_f64 v[95:96], v[57:58], v[101:102]
	v_fma_f64 v[99:100], v[119:120], -0.5, v[57:58]
	v_add_f64 v[119:120], v[103:104], -v[107:108]
	v_fma_f64 v[83:84], v[85:86], s[6:7], v[121:122]
	v_fma_f64 v[85:86], v[117:118], s[6:7], v[91:92]
	;; [unrolled: 1-line block ×4, first 2 shown]
	v_add_f64 v[91:92], v[59:60], v[103:104]
	v_fma_f64 v[103:104], v[97:98], -0.5, v[59:60]
	v_add_f64 v[101:102], v[101:102], -v[105:106]
	v_fma_f64 v[59:60], v[93:94], s[6:7], v[89:90]
	v_add_f64 v[89:90], v[95:96], v[105:106]
	v_add_f64 v[105:106], v[32:33], v[36:37]
	;; [unrolled: 1-line block ×3, first 2 shown]
	ds_read_b128 v[45:48], v44 offset:7776
	v_fma_f64 v[93:94], v[119:120], s[6:7], v[99:100]
	v_fma_f64 v[97:98], v[119:120], s[12:13], v[99:100]
	v_add_f64 v[119:120], v[34:35], v[113:114]
	v_add_f64 v[91:92], v[91:92], v[107:108]
	v_fma_f64 v[95:96], v[101:102], s[12:13], v[103:104]
	v_fma_f64 v[99:100], v[101:102], s[6:7], v[103:104]
	s_waitcnt lgkmcnt(0)
	v_add_f64 v[101:102], v[47:48], v[109:110]
	v_add_f64 v[107:108], v[45:46], v[32:33]
	v_fma_f64 v[105:106], v[105:106], -0.5, v[45:46]
	v_fma_f64 v[117:118], v[117:118], -0.5, v[47:48]
	ds_read_b128 v[45:48], v44 offset:9072
	v_add_f64 v[109:110], v[109:110], -v[38:39]
	v_add_f64 v[121:122], v[111:112], v[115:116]
	ds_write_b128 v44, v[0:3]
	v_add_f64 v[103:104], v[101:102], v[38:39]
	s_waitcnt lgkmcnt(1)
	v_fma_f64 v[119:120], v[119:120], -0.5, v[45:46]
	v_add_f64 v[101:102], v[107:108], v[36:37]
	v_add_f64 v[38:39], v[32:33], -v[36:37]
	v_add_f64 v[107:108], v[45:46], v[34:35]
	v_add_f64 v[111:112], v[47:48], v[111:112]
	v_fma_f64 v[32:33], v[109:110], s[6:7], v[105:106]
	v_fma_f64 v[36:37], v[109:110], s[12:13], v[105:106]
	v_fma_f64 v[121:122], v[121:122], -0.5, v[47:48]
	v_fma_f64 v[105:106], v[123:124], s[6:7], v[119:120]
	v_fma_f64 v[109:110], v[123:124], s[12:13], v[119:120]
	v_add_f64 v[119:120], v[24:25], v[28:29]
	v_fma_f64 v[34:35], v[38:39], s[12:13], v[117:118]
	v_fma_f64 v[38:39], v[38:39], s[6:7], v[117:118]
	v_add_f64 v[45:46], v[107:108], v[113:114]
	v_add_f64 v[47:48], v[111:112], v[115:116]
	;; [unrolled: 1-line block ×3, first 2 shown]
	ds_read_b128 v[113:116], v44 offset:10368
	v_add_f64 v[123:124], v[22:23], -v[26:27]
	v_fma_f64 v[107:108], v[125:126], s[12:13], v[121:122]
	v_fma_f64 v[111:112], v[125:126], s[6:7], v[121:122]
	v_add_f64 v[121:122], v[24:25], -v[28:29]
	s_waitcnt lgkmcnt(0)
	v_fma_f64 v[119:120], v[119:120], -0.5, v[115:116]
	v_add_f64 v[115:116], v[115:116], v[24:25]
	v_fma_f64 v[117:118], v[117:118], -0.5, v[113:114]
	v_add_f64 v[113:114], v[113:114], v[22:23]
	v_add_f64 v[24:25], v[115:116], v[28:29]
	v_fma_f64 v[28:29], v[123:124], s[12:13], v[119:120]
	v_fma_f64 v[115:116], v[123:124], s[6:7], v[119:120]
	v_add_f64 v[123:124], v[20:21], v[30:31]
	v_add_f64 v[22:23], v[113:114], v[26:27]
	v_fma_f64 v[26:27], v[121:122], s[6:7], v[117:118]
	v_fma_f64 v[113:114], v[121:122], s[12:13], v[117:118]
	ds_read_b128 v[117:120], v44 offset:11664
	v_add_f64 v[121:122], v[16:17], v[18:19]
	s_waitcnt lgkmcnt(0)
	v_fma_f64 v[123:124], v[123:124], -0.5, v[119:120]
	v_add_f64 v[119:120], v[119:120], v[20:21]
	v_add_f64 v[20:21], v[20:21], -v[30:31]
	v_fma_f64 v[121:122], v[121:122], -0.5, v[117:118]
	v_add_f64 v[117:118], v[117:118], v[16:17]
	v_add_f64 v[119:120], v[119:120], v[30:31]
	v_add_f64 v[30:31], v[16:17], -v[18:19]
	v_fma_f64 v[16:17], v[20:21], s[6:7], v[121:122]
	v_add_f64 v[117:118], v[117:118], v[18:19]
	v_fma_f64 v[121:122], v[20:21], s[12:13], v[121:122]
	v_fma_f64 v[18:19], v[30:31], s[12:13], v[123:124]
	;; [unrolled: 1-line block ×3, first 2 shown]
	buffer_load_dword v30, off, s[40:43], 0 offset:32 ; 4-byte Folded Reload
	buffer_load_dword v31, off, s[40:43], 0 offset:36 ; 4-byte Folded Reload
	ds_write_b128 v44, v[8:11] offset:12960
	ds_write_b128 v44, v[4:7] offset:25920
	;; [unrolled: 1-line block ×29, first 2 shown]
	s_waitcnt vmcnt(0) lgkmcnt(0)
	s_barrier
	ds_read_b128 v[0:3], v44
	buffer_load_dword v10, off, s[40:43], 0 offset:312 ; 4-byte Folded Reload
	buffer_load_dword v11, off, s[40:43], 0 offset:316 ; 4-byte Folded Reload
	;; [unrolled: 1-line block ×4, first 2 shown]
	v_mad_u64_u32 v[20:21], s[0:1], s10, v30, 0
	v_mov_b32_e32 v4, v21
	s_waitcnt vmcnt(0) lgkmcnt(0)
	v_mul_f64 v[5:6], v[12:13], v[2:3]
	v_mad_u64_u32 v[7:8], s[0:1], s11, v30, v[4:5]
	v_mul_f64 v[8:9], v[12:13], v[0:1]
	v_fma_f64 v[4:5], v[10:11], v[0:1], v[5:6]
	v_mov_b32_e32 v0, v10
	v_mov_b32_e32 v1, v11
	v_mad_u64_u32 v[10:11], s[0:1], s8, v255, 0
	v_mov_b32_e32 v21, v7
	s_mov_b32 s0, 0x40e53dbc
	v_fma_f64 v[6:7], v[0:1], v[2:3], -v[8:9]
	v_mov_b32_e32 v0, v11
	v_mad_u64_u32 v[8:9], s[4:5], s9, v255, v[0:1]
	ds_read_b128 v[0:3], v44 offset:3888
	s_mov_b32 s1, 0x3f3af834
	v_mov_b32_e32 v11, v8
	v_lshlrev_b64 v[8:9], 4, v[20:21]
	buffer_load_dword v18, off, s[40:43], 0 offset:296 ; 4-byte Folded Reload
	buffer_load_dword v19, off, s[40:43], 0 offset:300 ; 4-byte Folded Reload
	buffer_load_dword v20, off, s[40:43], 0 offset:304 ; 4-byte Folded Reload
	buffer_load_dword v21, off, s[40:43], 0 offset:308 ; 4-byte Folded Reload
	v_mul_f64 v[4:5], v[4:5], s[0:1]
	v_mul_f64 v[6:7], v[6:7], s[0:1]
	v_add_co_u32_e32 v16, vcc, s2, v8
	v_mov_b32_e32 v8, s3
	v_addc_co_u32_e32 v17, vcc, v8, v9, vcc
	v_lshlrev_b64 v[8:9], 4, v[10:11]
	s_mul_i32 s2, s9, 0xf30
	s_mul_hi_u32 s3, s8, 0xf30
	s_add_i32 s2, s3, s2
	s_mul_i32 s3, s8, 0xf30
	s_waitcnt vmcnt(0) lgkmcnt(0)
	v_mul_f64 v[12:13], v[20:21], v[2:3]
	v_mul_f64 v[14:15], v[20:21], v[0:1]
	v_fma_f64 v[10:11], v[18:19], v[0:1], v[12:13]
	v_fma_f64 v[12:13], v[18:19], v[2:3], -v[14:15]
	v_add_co_u32_e32 v14, vcc, v16, v8
	v_addc_co_u32_e32 v15, vcc, v17, v9, vcc
	global_store_dwordx4 v[14:15], v[4:7], off
	ds_read_b128 v[0:3], v44 offset:7776
	v_mul_f64 v[4:5], v[10:11], s[0:1]
	buffer_load_dword v8, off, s[40:43], 0 offset:280 ; 4-byte Folded Reload
	buffer_load_dword v9, off, s[40:43], 0 offset:284 ; 4-byte Folded Reload
	;; [unrolled: 1-line block ×4, first 2 shown]
	v_mul_f64 v[6:7], v[12:13], s[0:1]
	v_add_co_u32_e32 v14, vcc, s3, v14
	s_waitcnt vmcnt(0) lgkmcnt(0)
	v_mul_f64 v[12:13], v[10:11], v[2:3]
	v_mul_f64 v[16:17], v[10:11], v[0:1]
	v_mov_b32_e32 v19, v9
	v_mov_b32_e32 v18, v8
	ds_read_b128 v[8:11], v44 offset:11664
	v_fma_f64 v[0:1], v[18:19], v[0:1], v[12:13]
	v_fma_f64 v[2:3], v[18:19], v[2:3], -v[16:17]
	buffer_load_dword v18, off, s[40:43], 0 offset:264 ; 4-byte Folded Reload
	buffer_load_dword v19, off, s[40:43], 0 offset:268 ; 4-byte Folded Reload
	buffer_load_dword v20, off, s[40:43], 0 offset:272 ; 4-byte Folded Reload
	buffer_load_dword v21, off, s[40:43], 0 offset:276 ; 4-byte Folded Reload
	v_mov_b32_e32 v16, s2
	v_addc_co_u32_e32 v15, vcc, v15, v16, vcc
	global_store_dwordx4 v[14:15], v[4:7], off
	ds_read_b128 v[4:7], v44 offset:15552
	v_mul_f64 v[0:1], v[0:1], s[0:1]
	v_mul_f64 v[2:3], v[2:3], s[0:1]
	v_add_co_u32_e32 v14, vcc, s3, v14
	s_waitcnt vmcnt(1) lgkmcnt(1)
	v_mul_f64 v[12:13], v[20:21], v[10:11]
	v_mul_f64 v[16:17], v[20:21], v[8:9]
	v_fma_f64 v[8:9], v[18:19], v[8:9], v[12:13]
	v_fma_f64 v[10:11], v[18:19], v[10:11], -v[16:17]
	buffer_load_dword v18, off, s[40:43], 0 offset:232 ; 4-byte Folded Reload
	buffer_load_dword v19, off, s[40:43], 0 offset:236 ; 4-byte Folded Reload
	buffer_load_dword v20, off, s[40:43], 0 offset:240 ; 4-byte Folded Reload
	buffer_load_dword v21, off, s[40:43], 0 offset:244 ; 4-byte Folded Reload
	v_mov_b32_e32 v12, s2
	v_addc_co_u32_e32 v15, vcc, v15, v12, vcc
	global_store_dwordx4 v[14:15], v[0:3], off
	v_add_co_u32_e32 v14, vcc, s3, v14
	v_mul_f64 v[0:1], v[8:9], s[0:1]
	v_mul_f64 v[2:3], v[10:11], s[0:1]
	ds_read_b128 v[8:11], v44 offset:19440
	s_waitcnt vmcnt(1) lgkmcnt(1)
	v_mul_f64 v[12:13], v[20:21], v[6:7]
	v_mul_f64 v[16:17], v[20:21], v[4:5]
	v_fma_f64 v[4:5], v[18:19], v[4:5], v[12:13]
	v_fma_f64 v[6:7], v[18:19], v[6:7], -v[16:17]
	buffer_load_dword v18, off, s[40:43], 0 offset:200 ; 4-byte Folded Reload
	buffer_load_dword v19, off, s[40:43], 0 offset:204 ; 4-byte Folded Reload
	buffer_load_dword v20, off, s[40:43], 0 offset:208 ; 4-byte Folded Reload
	buffer_load_dword v21, off, s[40:43], 0 offset:212 ; 4-byte Folded Reload
	v_mov_b32_e32 v16, s2
	v_addc_co_u32_e32 v15, vcc, v15, v16, vcc
	global_store_dwordx4 v[14:15], v[0:3], off
	v_add_co_u32_e32 v14, vcc, s3, v14
	v_mul_f64 v[0:1], v[4:5], s[0:1]
	v_mul_f64 v[2:3], v[6:7], s[0:1]
	ds_read_b128 v[4:7], v44 offset:23328
	;; [unrolled: 16-line block ×7, first 2 shown]
	s_waitcnt vmcnt(1) lgkmcnt(1)
	v_mul_f64 v[12:13], v[20:21], v[6:7]
	v_mul_f64 v[16:17], v[20:21], v[4:5]
	buffer_load_dword v20, off, s[40:43], 0 offset:456 ; 4-byte Folded Reload
	buffer_load_dword v21, off, s[40:43], 0 offset:460 ; 4-byte Folded Reload
	;; [unrolled: 1-line block ×4, first 2 shown]
	v_fma_f64 v[4:5], v[18:19], v[4:5], v[12:13]
	v_fma_f64 v[6:7], v[18:19], v[6:7], -v[16:17]
	v_mov_b32_e32 v16, s2
	v_addc_co_u32_e32 v15, vcc, v15, v16, vcc
	global_store_dwordx4 v[14:15], v[0:3], off
	v_mov_b32_e32 v19, 0xffff7c60
	v_mad_u64_u32 v[14:15], s[4:5], s8, v19, v[14:15]
	v_mul_f64 v[0:1], v[4:5], s[0:1]
	v_mul_f64 v[2:3], v[6:7], s[0:1]
	ds_read_b128 v[4:7], v44 offset:9072
	s_mul_i32 s4, s9, 0xffff7c60
	s_sub_i32 s4, s4, s8
	v_add_u32_e32 v15, s4, v15
	v_mov_b32_e32 v18, s2
	s_waitcnt vmcnt(1) lgkmcnt(1)
	v_mul_f64 v[12:13], v[22:23], v[10:11]
	v_mul_f64 v[16:17], v[22:23], v[8:9]
	v_fma_f64 v[8:9], v[20:21], v[8:9], v[12:13]
	v_fma_f64 v[10:11], v[20:21], v[10:11], -v[16:17]
	buffer_load_dword v20, off, s[40:43], 0 offset:440 ; 4-byte Folded Reload
	buffer_load_dword v21, off, s[40:43], 0 offset:444 ; 4-byte Folded Reload
	;; [unrolled: 1-line block ×4, first 2 shown]
	s_waitcnt vmcnt(0) lgkmcnt(0)
	v_mul_f64 v[12:13], v[22:23], v[6:7]
	v_mul_f64 v[16:17], v[22:23], v[4:5]
	global_store_dwordx4 v[14:15], v[0:3], off
	v_add_co_u32_e32 v14, vcc, s3, v14
	v_mul_f64 v[0:1], v[8:9], s[0:1]
	v_mul_f64 v[2:3], v[10:11], s[0:1]
	ds_read_b128 v[8:11], v44 offset:12960
	v_fma_f64 v[4:5], v[20:21], v[4:5], v[12:13]
	v_fma_f64 v[6:7], v[20:21], v[6:7], -v[16:17]
	buffer_load_dword v20, off, s[40:43], 0 offset:424 ; 4-byte Folded Reload
	buffer_load_dword v21, off, s[40:43], 0 offset:428 ; 4-byte Folded Reload
	buffer_load_dword v22, off, s[40:43], 0 offset:432 ; 4-byte Folded Reload
	buffer_load_dword v23, off, s[40:43], 0 offset:436 ; 4-byte Folded Reload
	v_mov_b32_e32 v16, s2
	v_addc_co_u32_e32 v15, vcc, v15, v16, vcc
	global_store_dwordx4 v[14:15], v[0:3], off
	v_add_co_u32_e32 v14, vcc, s3, v14
	v_mul_f64 v[0:1], v[4:5], s[0:1]
	v_mul_f64 v[2:3], v[6:7], s[0:1]
	ds_read_b128 v[4:7], v44 offset:16848
	s_waitcnt vmcnt(1) lgkmcnt(1)
	v_mul_f64 v[12:13], v[22:23], v[10:11]
	v_mul_f64 v[16:17], v[22:23], v[8:9]
	v_fma_f64 v[8:9], v[20:21], v[8:9], v[12:13]
	v_fma_f64 v[10:11], v[20:21], v[10:11], -v[16:17]
	buffer_load_dword v20, off, s[40:43], 0 offset:408 ; 4-byte Folded Reload
	buffer_load_dword v21, off, s[40:43], 0 offset:412 ; 4-byte Folded Reload
	buffer_load_dword v22, off, s[40:43], 0 offset:416 ; 4-byte Folded Reload
	buffer_load_dword v23, off, s[40:43], 0 offset:420 ; 4-byte Folded Reload
	v_mov_b32_e32 v12, s2
	v_addc_co_u32_e32 v15, vcc, v15, v12, vcc
	global_store_dwordx4 v[14:15], v[0:3], off
	v_add_co_u32_e32 v14, vcc, s3, v14
	v_mul_f64 v[0:1], v[8:9], s[0:1]
	v_mul_f64 v[2:3], v[10:11], s[0:1]
	ds_read_b128 v[8:11], v44 offset:20736
	s_waitcnt vmcnt(1) lgkmcnt(1)
	v_mul_f64 v[12:13], v[22:23], v[6:7]
	v_mul_f64 v[16:17], v[22:23], v[4:5]
	;; [unrolled: 16-line block ×3, first 2 shown]
	v_fma_f64 v[8:9], v[20:21], v[8:9], v[12:13]
	v_fma_f64 v[10:11], v[20:21], v[10:11], -v[16:17]
	buffer_load_dword v20, off, s[40:43], 0 offset:376 ; 4-byte Folded Reload
	buffer_load_dword v21, off, s[40:43], 0 offset:380 ; 4-byte Folded Reload
	;; [unrolled: 1-line block ×4, first 2 shown]
	v_mov_b32_e32 v12, s2
	v_addc_co_u32_e32 v15, vcc, v15, v12, vcc
	global_store_dwordx4 v[14:15], v[0:3], off
	v_add_co_u32_e32 v14, vcc, s3, v14
	v_mul_f64 v[0:1], v[8:9], s[0:1]
	v_mul_f64 v[2:3], v[10:11], s[0:1]
	ds_read_b128 v[8:11], v44 offset:28512
	v_addc_co_u32_e32 v15, vcc, v15, v18, vcc
	s_waitcnt vmcnt(1) lgkmcnt(1)
	v_mul_f64 v[12:13], v[22:23], v[6:7]
	v_mul_f64 v[16:17], v[22:23], v[4:5]
	v_fma_f64 v[4:5], v[20:21], v[4:5], v[12:13]
	v_fma_f64 v[6:7], v[20:21], v[6:7], -v[16:17]
	buffer_load_dword v20, off, s[40:43], 0 offset:360 ; 4-byte Folded Reload
	buffer_load_dword v21, off, s[40:43], 0 offset:364 ; 4-byte Folded Reload
	;; [unrolled: 1-line block ×4, first 2 shown]
	s_waitcnt vmcnt(0) lgkmcnt(0)
	v_mul_f64 v[12:13], v[22:23], v[10:11]
	global_store_dwordx4 v[14:15], v[0:3], off
	v_mul_f64 v[16:17], v[22:23], v[8:9]
	v_mul_f64 v[0:1], v[4:5], s[0:1]
	;; [unrolled: 1-line block ×3, first 2 shown]
	v_add_co_u32_e32 v14, vcc, s3, v14
	ds_read_b128 v[4:7], v44 offset:32400
	v_fma_f64 v[8:9], v[20:21], v[8:9], v[12:13]
	v_mov_b32_e32 v12, s2
	v_addc_co_u32_e32 v15, vcc, v15, v12, vcc
	global_store_dwordx4 v[14:15], v[0:3], off
	buffer_load_dword v0, off, s[40:43], 0 offset:344 ; 4-byte Folded Reload
	s_nop 0
	buffer_load_dword v1, off, s[40:43], 0 offset:348 ; 4-byte Folded Reload
	buffer_load_dword v2, off, s[40:43], 0 offset:352 ; 4-byte Folded Reload
	;; [unrolled: 1-line block ×3, first 2 shown]
	v_fma_f64 v[10:11], v[20:21], v[10:11], -v[16:17]
	v_add_co_u32_e32 v14, vcc, s3, v14
	v_addc_co_u32_e32 v15, vcc, v15, v18, vcc
	s_waitcnt vmcnt(0) lgkmcnt(0)
	v_mul_f64 v[12:13], v[2:3], v[6:7]
	v_mul_f64 v[16:17], v[2:3], v[4:5]
	v_mov_b32_e32 v21, v1
	v_mov_b32_e32 v20, v0
	v_mul_f64 v[0:1], v[8:9], s[0:1]
	v_mul_f64 v[2:3], v[10:11], s[0:1]
	ds_read_b128 v[8:11], v44 offset:36288
	v_fma_f64 v[4:5], v[20:21], v[4:5], v[12:13]
	v_fma_f64 v[6:7], v[20:21], v[6:7], -v[16:17]
	buffer_load_dword v20, off, s[40:43], 0 offset:328 ; 4-byte Folded Reload
	buffer_load_dword v21, off, s[40:43], 0 offset:332 ; 4-byte Folded Reload
	;; [unrolled: 1-line block ×4, first 2 shown]
	v_mul_f64 v[4:5], v[4:5], s[0:1]
	global_store_dwordx4 v[14:15], v[0:3], off
	ds_read_b128 v[0:3], v44 offset:2592
	v_mul_f64 v[6:7], v[6:7], s[0:1]
	s_waitcnt vmcnt(1) lgkmcnt(1)
	v_mul_f64 v[12:13], v[22:23], v[10:11]
	v_mul_f64 v[16:17], v[22:23], v[8:9]
	buffer_load_dword v22, off, s[40:43], 0 offset:248 ; 4-byte Folded Reload
	buffer_load_dword v23, off, s[40:43], 0 offset:252 ; 4-byte Folded Reload
	;; [unrolled: 1-line block ×4, first 2 shown]
	v_fma_f64 v[8:9], v[20:21], v[8:9], v[12:13]
	v_fma_f64 v[10:11], v[20:21], v[10:11], -v[16:17]
	v_add_co_u32_e32 v20, vcc, s3, v14
	v_mov_b32_e32 v14, s2
	v_addc_co_u32_e32 v21, vcc, v15, v14, vcc
	v_mul_f64 v[8:9], v[8:9], s[0:1]
	v_mul_f64 v[10:11], v[10:11], s[0:1]
	s_waitcnt vmcnt(0) lgkmcnt(0)
	v_mul_f64 v[12:13], v[24:25], v[2:3]
	v_mul_f64 v[16:17], v[24:25], v[0:1]
	v_fma_f64 v[0:1], v[22:23], v[0:1], v[12:13]
	ds_read_b128 v[12:15], v44 offset:6480
	buffer_load_dword v28, off, s[40:43], 0 offset:216 ; 4-byte Folded Reload
	buffer_load_dword v29, off, s[40:43], 0 offset:220 ; 4-byte Folded Reload
	;; [unrolled: 1-line block ×4, first 2 shown]
	v_fma_f64 v[2:3], v[22:23], v[2:3], -v[16:17]
	v_add_co_u32_e32 v22, vcc, s3, v20
	v_mov_b32_e32 v16, s2
	v_addc_co_u32_e32 v23, vcc, v21, v16, vcc
	v_mul_f64 v[0:1], v[0:1], s[0:1]
	v_mul_f64 v[2:3], v[2:3], s[0:1]
	s_waitcnt vmcnt(0) lgkmcnt(0)
	v_mul_f64 v[24:25], v[30:31], v[14:15]
	v_mul_f64 v[26:27], v[30:31], v[12:13]
	v_mov_b32_e32 v31, v29
	v_mov_b32_e32 v30, v28
	v_mad_u64_u32 v[28:29], s[6:7], s8, v19, v[22:23]
	ds_read_b128 v[16:19], v44 offset:10368
	global_store_dwordx4 v[20:21], v[4:7], off
	global_store_dwordx4 v[22:23], v[8:11], off
	buffer_load_dword v6, off, s[40:43], 0 offset:120 ; 4-byte Folded Reload
	s_nop 0
	buffer_load_dword v7, off, s[40:43], 0 offset:124 ; 4-byte Folded Reload
	buffer_load_dword v8, off, s[40:43], 0 offset:128 ; 4-byte Folded Reload
	;; [unrolled: 1-line block ×3, first 2 shown]
	v_fma_f64 v[12:13], v[30:31], v[12:13], v[24:25]
	v_fma_f64 v[14:15], v[30:31], v[14:15], -v[26:27]
	v_add_u32_e32 v29, s4, v29
	global_store_dwordx4 v[28:29], v[0:3], off
	s_waitcnt vmcnt(1) lgkmcnt(0)
	v_mul_f64 v[4:5], v[8:9], v[18:19]
	v_mul_f64 v[8:9], v[8:9], v[16:17]
	;; [unrolled: 1-line block ×4, first 2 shown]
	v_mov_b32_e32 v14, v7
	v_mov_b32_e32 v13, v6
	v_add_co_u32_e32 v12, vcc, s3, v28
	v_fma_f64 v[10:11], v[6:7], v[16:17], v[4:5]
	ds_read_b128 v[4:7], v44 offset:14256
	v_fma_f64 v[8:9], v[13:14], v[18:19], -v[8:9]
	buffer_load_dword v18, off, s[40:43], 0 offset:104 ; 4-byte Folded Reload
	buffer_load_dword v19, off, s[40:43], 0 offset:108 ; 4-byte Folded Reload
	buffer_load_dword v20, off, s[40:43], 0 offset:112 ; 4-byte Folded Reload
	buffer_load_dword v21, off, s[40:43], 0 offset:116 ; 4-byte Folded Reload
	v_mov_b32_e32 v13, s2
	v_addc_co_u32_e32 v13, vcc, v29, v13, vcc
	global_store_dwordx4 v[12:13], v[0:3], off
	v_add_co_u32_e32 v12, vcc, s3, v12
	v_mul_f64 v[0:1], v[10:11], s[0:1]
	v_mul_f64 v[2:3], v[8:9], s[0:1]
	ds_read_b128 v[8:11], v44 offset:18144
	s_waitcnt vmcnt(1) lgkmcnt(1)
	v_mul_f64 v[14:15], v[20:21], v[6:7]
	v_mul_f64 v[16:17], v[20:21], v[4:5]
	v_fma_f64 v[4:5], v[18:19], v[4:5], v[14:15]
	v_fma_f64 v[6:7], v[18:19], v[6:7], -v[16:17]
	buffer_load_dword v18, off, s[40:43], 0 offset:88 ; 4-byte Folded Reload
	buffer_load_dword v19, off, s[40:43], 0 offset:92 ; 4-byte Folded Reload
	buffer_load_dword v20, off, s[40:43], 0 offset:96 ; 4-byte Folded Reload
	buffer_load_dword v21, off, s[40:43], 0 offset:100 ; 4-byte Folded Reload
	v_mov_b32_e32 v16, s2
	v_addc_co_u32_e32 v13, vcc, v13, v16, vcc
	global_store_dwordx4 v[12:13], v[0:3], off
	v_add_co_u32_e32 v12, vcc, s3, v12
	v_mul_f64 v[0:1], v[4:5], s[0:1]
	v_mul_f64 v[2:3], v[6:7], s[0:1]
	ds_read_b128 v[4:7], v44 offset:22032
	s_waitcnt vmcnt(1) lgkmcnt(1)
	v_mul_f64 v[14:15], v[20:21], v[10:11]
	v_mul_f64 v[16:17], v[20:21], v[8:9]
	v_fma_f64 v[8:9], v[18:19], v[8:9], v[14:15]
	v_fma_f64 v[10:11], v[18:19], v[10:11], -v[16:17]
	buffer_load_dword v18, off, s[40:43], 0 offset:56 ; 4-byte Folded Reload
	buffer_load_dword v19, off, s[40:43], 0 offset:60 ; 4-byte Folded Reload
	buffer_load_dword v20, off, s[40:43], 0 offset:64 ; 4-byte Folded Reload
	buffer_load_dword v21, off, s[40:43], 0 offset:68 ; 4-byte Folded Reload
	v_mov_b32_e32 v14, s2
	v_addc_co_u32_e32 v13, vcc, v13, v14, vcc
	global_store_dwordx4 v[12:13], v[0:3], off
	v_add_co_u32_e32 v12, vcc, s3, v12
	v_mul_f64 v[0:1], v[8:9], s[0:1]
	v_mul_f64 v[2:3], v[10:11], s[0:1]
	ds_read_b128 v[8:11], v44 offset:25920
	s_waitcnt vmcnt(1) lgkmcnt(1)
	v_mul_f64 v[14:15], v[20:21], v[6:7]
	v_mul_f64 v[16:17], v[20:21], v[4:5]
	v_fma_f64 v[4:5], v[18:19], v[4:5], v[14:15]
	v_fma_f64 v[6:7], v[18:19], v[6:7], -v[16:17]
	buffer_load_dword v18, off, s[40:43], 0 offset:72 ; 4-byte Folded Reload
	buffer_load_dword v19, off, s[40:43], 0 offset:76 ; 4-byte Folded Reload
	buffer_load_dword v20, off, s[40:43], 0 offset:80 ; 4-byte Folded Reload
	buffer_load_dword v21, off, s[40:43], 0 offset:84 ; 4-byte Folded Reload
	v_mov_b32_e32 v16, s2
	v_addc_co_u32_e32 v13, vcc, v13, v16, vcc
	global_store_dwordx4 v[12:13], v[0:3], off
	v_add_co_u32_e32 v12, vcc, s3, v12
	v_mul_f64 v[0:1], v[4:5], s[0:1]
	v_mul_f64 v[2:3], v[6:7], s[0:1]
	ds_read_b128 v[4:7], v44 offset:29808
	s_waitcnt vmcnt(1) lgkmcnt(1)
	v_mul_f64 v[14:15], v[20:21], v[10:11]
	v_mul_f64 v[16:17], v[20:21], v[8:9]
	v_fma_f64 v[8:9], v[18:19], v[8:9], v[14:15]
	v_fma_f64 v[10:11], v[18:19], v[10:11], -v[16:17]
	buffer_load_dword v19, off, s[40:43], 0 offset:40 ; 4-byte Folded Reload
	buffer_load_dword v20, off, s[40:43], 0 offset:44 ; 4-byte Folded Reload
	;; [unrolled: 1-line block ×4, first 2 shown]
	v_mov_b32_e32 v14, s2
	v_addc_co_u32_e32 v13, vcc, v13, v14, vcc
	global_store_dwordx4 v[12:13], v[0:3], off
	v_add_co_u32_e32 v12, vcc, s3, v12
	v_mul_f64 v[0:1], v[8:9], s[0:1]
	v_mul_f64 v[2:3], v[10:11], s[0:1]
	v_mov_b32_e32 v18, s2
	v_addc_co_u32_e32 v13, vcc, v13, v18, vcc
	global_store_dwordx4 v[12:13], v[0:3], off
	ds_read_b128 v[0:3], v44 offset:37584
	v_add_co_u32_e32 v12, vcc, s3, v12
	s_waitcnt vmcnt(2) lgkmcnt(1)
	v_mul_f64 v[14:15], v[21:22], v[6:7]
	v_mul_f64 v[16:17], v[21:22], v[4:5]
	v_fma_f64 v[8:9], v[19:20], v[4:5], v[14:15]
	v_fma_f64 v[10:11], v[19:20], v[6:7], -v[16:17]
	ds_read_b128 v[4:7], v44 offset:33696
	buffer_load_dword v18, off, s[40:43], 0 offset:16 ; 4-byte Folded Reload
	buffer_load_dword v19, off, s[40:43], 0 offset:20 ; 4-byte Folded Reload
	;; [unrolled: 1-line block ×4, first 2 shown]
	buffer_load_dword v24, off, s[40:43], 0 ; 4-byte Folded Reload
	buffer_load_dword v25, off, s[40:43], 0 offset:4 ; 4-byte Folded Reload
	buffer_load_dword v26, off, s[40:43], 0 offset:8 ; 4-byte Folded Reload
	;; [unrolled: 1-line block ×3, first 2 shown]
	v_mul_f64 v[8:9], v[8:9], s[0:1]
	v_mul_f64 v[10:11], v[10:11], s[0:1]
	s_waitcnt vmcnt(4) lgkmcnt(0)
	v_mul_f64 v[14:15], v[20:21], v[6:7]
	v_mul_f64 v[16:17], v[20:21], v[4:5]
	v_mov_b32_e32 v23, v19
	v_mov_b32_e32 v22, v18
	s_waitcnt vmcnt(0)
	v_mul_f64 v[18:19], v[26:27], v[2:3]
	v_mul_f64 v[20:21], v[26:27], v[0:1]
	v_fma_f64 v[4:5], v[22:23], v[4:5], v[14:15]
	v_fma_f64 v[6:7], v[22:23], v[6:7], -v[16:17]
	v_mov_b32_e32 v14, s2
	v_addc_co_u32_e32 v13, vcc, v13, v14, vcc
	v_fma_f64 v[14:15], v[24:25], v[0:1], v[18:19]
	v_fma_f64 v[16:17], v[24:25], v[2:3], -v[20:21]
	global_store_dwordx4 v[12:13], v[8:11], off
	v_mul_f64 v[0:1], v[4:5], s[0:1]
	v_mul_f64 v[2:3], v[6:7], s[0:1]
	v_add_co_u32_e32 v8, vcc, s3, v12
	v_mov_b32_e32 v9, s2
	v_mul_f64 v[4:5], v[14:15], s[0:1]
	v_mul_f64 v[6:7], v[16:17], s[0:1]
	v_addc_co_u32_e32 v9, vcc, v13, v9, vcc
	global_store_dwordx4 v[8:9], v[0:3], off
	s_nop 0
	v_add_co_u32_e32 v0, vcc, s3, v8
	v_mov_b32_e32 v1, s2
	v_addc_co_u32_e32 v1, vcc, v9, v1, vcc
	global_store_dwordx4 v[0:1], v[4:7], off
.LBB0_2:
	s_endpgm
	.section	.rodata,"a",@progbits
	.p2align	6, 0x0
	.amdhsa_kernel bluestein_single_fwd_len2430_dim1_dp_op_CI_CI
		.amdhsa_group_segment_fixed_size 38880
		.amdhsa_private_segment_fixed_size 1764
		.amdhsa_kernarg_size 104
		.amdhsa_user_sgpr_count 6
		.amdhsa_user_sgpr_private_segment_buffer 1
		.amdhsa_user_sgpr_dispatch_ptr 0
		.amdhsa_user_sgpr_queue_ptr 0
		.amdhsa_user_sgpr_kernarg_segment_ptr 1
		.amdhsa_user_sgpr_dispatch_id 0
		.amdhsa_user_sgpr_flat_scratch_init 0
		.amdhsa_user_sgpr_private_segment_size 0
		.amdhsa_uses_dynamic_stack 0
		.amdhsa_system_sgpr_private_segment_wavefront_offset 1
		.amdhsa_system_sgpr_workgroup_id_x 1
		.amdhsa_system_sgpr_workgroup_id_y 0
		.amdhsa_system_sgpr_workgroup_id_z 0
		.amdhsa_system_sgpr_workgroup_info 0
		.amdhsa_system_vgpr_workitem_id 0
		.amdhsa_next_free_vgpr 256
		.amdhsa_next_free_sgpr 44
		.amdhsa_reserve_vcc 1
		.amdhsa_reserve_flat_scratch 0
		.amdhsa_float_round_mode_32 0
		.amdhsa_float_round_mode_16_64 0
		.amdhsa_float_denorm_mode_32 3
		.amdhsa_float_denorm_mode_16_64 3
		.amdhsa_dx10_clamp 1
		.amdhsa_ieee_mode 1
		.amdhsa_fp16_overflow 0
		.amdhsa_exception_fp_ieee_invalid_op 0
		.amdhsa_exception_fp_denorm_src 0
		.amdhsa_exception_fp_ieee_div_zero 0
		.amdhsa_exception_fp_ieee_overflow 0
		.amdhsa_exception_fp_ieee_underflow 0
		.amdhsa_exception_fp_ieee_inexact 0
		.amdhsa_exception_int_div_zero 0
	.end_amdhsa_kernel
	.text
.Lfunc_end0:
	.size	bluestein_single_fwd_len2430_dim1_dp_op_CI_CI, .Lfunc_end0-bluestein_single_fwd_len2430_dim1_dp_op_CI_CI
                                        ; -- End function
	.section	.AMDGPU.csdata,"",@progbits
; Kernel info:
; codeLenInByte = 49780
; NumSgprs: 48
; NumVgprs: 256
; ScratchSize: 1764
; MemoryBound: 0
; FloatMode: 240
; IeeeMode: 1
; LDSByteSize: 38880 bytes/workgroup (compile time only)
; SGPRBlocks: 5
; VGPRBlocks: 63
; NumSGPRsForWavesPerEU: 48
; NumVGPRsForWavesPerEU: 256
; Occupancy: 1
; WaveLimiterHint : 1
; COMPUTE_PGM_RSRC2:SCRATCH_EN: 1
; COMPUTE_PGM_RSRC2:USER_SGPR: 6
; COMPUTE_PGM_RSRC2:TRAP_HANDLER: 0
; COMPUTE_PGM_RSRC2:TGID_X_EN: 1
; COMPUTE_PGM_RSRC2:TGID_Y_EN: 0
; COMPUTE_PGM_RSRC2:TGID_Z_EN: 0
; COMPUTE_PGM_RSRC2:TIDIG_COMP_CNT: 0
	.type	__hip_cuid_6cfab677e97162ee,@object ; @__hip_cuid_6cfab677e97162ee
	.section	.bss,"aw",@nobits
	.globl	__hip_cuid_6cfab677e97162ee
__hip_cuid_6cfab677e97162ee:
	.byte	0                               ; 0x0
	.size	__hip_cuid_6cfab677e97162ee, 1

	.ident	"AMD clang version 19.0.0git (https://github.com/RadeonOpenCompute/llvm-project roc-6.4.0 25133 c7fe45cf4b819c5991fe208aaa96edf142730f1d)"
	.section	".note.GNU-stack","",@progbits
	.addrsig
	.addrsig_sym __hip_cuid_6cfab677e97162ee
	.amdgpu_metadata
---
amdhsa.kernels:
  - .args:
      - .actual_access:  read_only
        .address_space:  global
        .offset:         0
        .size:           8
        .value_kind:     global_buffer
      - .actual_access:  read_only
        .address_space:  global
        .offset:         8
        .size:           8
        .value_kind:     global_buffer
      - .actual_access:  read_only
        .address_space:  global
        .offset:         16
        .size:           8
        .value_kind:     global_buffer
      - .actual_access:  read_only
        .address_space:  global
        .offset:         24
        .size:           8
        .value_kind:     global_buffer
      - .actual_access:  read_only
        .address_space:  global
        .offset:         32
        .size:           8
        .value_kind:     global_buffer
      - .offset:         40
        .size:           8
        .value_kind:     by_value
      - .address_space:  global
        .offset:         48
        .size:           8
        .value_kind:     global_buffer
      - .address_space:  global
        .offset:         56
        .size:           8
        .value_kind:     global_buffer
      - .address_space:  global
        .offset:         64
        .size:           8
        .value_kind:     global_buffer
      - .address_space:  global
        .offset:         72
        .size:           8
        .value_kind:     global_buffer
      - .offset:         80
        .size:           4
        .value_kind:     by_value
      - .address_space:  global
        .offset:         88
        .size:           8
        .value_kind:     global_buffer
      - .address_space:  global
        .offset:         96
        .size:           8
        .value_kind:     global_buffer
    .group_segment_fixed_size: 38880
    .kernarg_segment_align: 8
    .kernarg_segment_size: 104
    .language:       OpenCL C
    .language_version:
      - 2
      - 0
    .max_flat_workgroup_size: 81
    .name:           bluestein_single_fwd_len2430_dim1_dp_op_CI_CI
    .private_segment_fixed_size: 1764
    .sgpr_count:     48
    .sgpr_spill_count: 0
    .symbol:         bluestein_single_fwd_len2430_dim1_dp_op_CI_CI.kd
    .uniform_work_group_size: 1
    .uses_dynamic_stack: false
    .vgpr_count:     256
    .vgpr_spill_count: 440
    .wavefront_size: 64
amdhsa.target:   amdgcn-amd-amdhsa--gfx906
amdhsa.version:
  - 1
  - 2
...

	.end_amdgpu_metadata
